;; amdgpu-corpus repo=ROCm/rocFFT kind=compiled arch=gfx1030 opt=O3
	.text
	.amdgcn_target "amdgcn-amd-amdhsa--gfx1030"
	.amdhsa_code_object_version 6
	.protected	bluestein_single_back_len650_dim1_sp_op_CI_CI ; -- Begin function bluestein_single_back_len650_dim1_sp_op_CI_CI
	.globl	bluestein_single_back_len650_dim1_sp_op_CI_CI
	.p2align	8
	.type	bluestein_single_back_len650_dim1_sp_op_CI_CI,@function
bluestein_single_back_len650_dim1_sp_op_CI_CI: ; @bluestein_single_back_len650_dim1_sp_op_CI_CI
; %bb.0:
	s_load_dwordx4 s[12:15], s[4:5], 0x28
	v_mul_u32_u24_e32 v1, 0x3f1, v0
	s_mov_b32 s0, exec_lo
	v_lshrrev_b32_e32 v1, 16, v1
	v_mad_u64_u32 v[64:65], null, s6, 3, v[1:2]
	v_mov_b32_e32 v65, 0
	s_waitcnt lgkmcnt(0)
	v_cmpx_gt_u64_e64 s[12:13], v[64:65]
	s_cbranch_execz .LBB0_10
; %bb.1:
	s_clause 0x1
	s_load_dwordx4 s[8:11], s[4:5], 0x18
	s_load_dwordx4 s[0:3], s[4:5], 0x0
	v_mul_lo_u16 v1, 0x41, v1
	s_load_dwordx2 s[4:5], s[4:5], 0x38
	v_sub_nc_u16 v20, v0, v1
	v_and_b32_e32 v89, 0xffff, v20
	v_add_nc_u16 v29, v20, 0x41
	v_lshlrev_b32_e32 v21, 3, v89
	v_and_b32_e32 v24, 0xff, v29
	s_waitcnt lgkmcnt(0)
	s_load_dwordx4 s[16:19], s[8:9], 0x0
	s_clause 0x3
	global_load_dwordx2 v[73:74], v21, s[0:1]
	global_load_dwordx2 v[83:84], v21, s[0:1] offset:520
	global_load_dwordx2 v[67:68], v21, s[0:1] offset:1040
	;; [unrolled: 1-line block ×3, first 2 shown]
	v_add_co_u32 v92, s6, s0, v21
	v_add_co_ci_u32_e64 v93, null, s1, 0, s6
	s_waitcnt lgkmcnt(0)
	v_mad_u64_u32 v[0:1], null, s18, v64, 0
	v_mad_u64_u32 v[2:3], null, s16, v89, 0
	s_mul_i32 s0, s17, 0x208
	s_mul_hi_u32 s1, s16, 0x208
	s_mul_i32 s6, s16, 0x208
	s_add_i32 s1, s1, s0
	v_mad_u64_u32 v[4:5], null, s19, v64, v[1:2]
	v_mad_u64_u32 v[5:6], null, s17, v89, v[3:4]
	v_mov_b32_e32 v1, v4
	v_add_co_u32 v4, vcc_lo, 0x800, v92
	v_lshlrev_b64 v[0:1], 3, v[0:1]
	v_mov_b32_e32 v3, v5
	v_add_co_ci_u32_e32 v5, vcc_lo, 0, v93, vcc_lo
	s_clause 0x3
	global_load_dwordx2 v[81:82], v[4:5], off offset:32
	global_load_dwordx2 v[79:80], v[4:5], off offset:552
	;; [unrolled: 1-line block ×4, first 2 shown]
	v_lshlrev_b64 v[2:3], 3, v[2:3]
	v_add_co_u32 v0, vcc_lo, s14, v0
	v_add_co_ci_u32_e32 v1, vcc_lo, s15, v1, vcc_lo
	v_add_co_u32 v0, vcc_lo, v0, v2
	v_add_co_ci_u32_e32 v1, vcc_lo, v1, v3, vcc_lo
	;; [unrolled: 2-line block ×5, first 2 shown]
	global_load_dwordx2 v[14:15], v[0:1], off
	v_add_co_u32 v4, vcc_lo, v6, s6
	v_add_co_ci_u32_e32 v5, vcc_lo, s1, v7, vcc_lo
	s_clause 0x1
	global_load_dwordx2 v[16:17], v[2:3], off
	global_load_dwordx2 v[8:9], v[6:7], off
	v_add_co_u32 v0, vcc_lo, v4, s6
	v_add_co_ci_u32_e32 v1, vcc_lo, s1, v5, vcc_lo
	s_clause 0x1
	global_load_dwordx2 v[10:11], v[4:5], off
	global_load_dwordx2 v[6:7], v[0:1], off
	v_add_co_u32 v2, vcc_lo, v0, s6
	v_add_co_ci_u32_e32 v3, vcc_lo, s1, v1, vcc_lo
	v_add_co_u32 v0, vcc_lo, v2, s6
	v_add_co_ci_u32_e32 v1, vcc_lo, s1, v3, vcc_lo
	global_load_dwordx2 v[2:3], v[2:3], off
	v_add_co_u32 v12, vcc_lo, v0, s6
	v_add_co_ci_u32_e32 v13, vcc_lo, s1, v1, vcc_lo
	global_load_dwordx2 v[4:5], v[0:1], off
	;; [unrolled: 3-line block ×4, first 2 shown]
	s_clause 0x1
	global_load_dwordx2 v[71:72], v[85:86], off offset:64
	global_load_dwordx2 v[77:78], v[85:86], off offset:584
	global_load_dwordx2 v[18:19], v[22:23], off
	v_mul_hi_u32 v22, 0xaaaaaaab, v64
	v_and_b32_e32 v23, 0xff, v20
	s_load_dwordx4 s[8:11], s[10:11], 0x0
	v_cmp_gt_u16_e32 vcc_lo, 50, v20
	v_lshrrev_b32_e32 v22, 1, v22
	v_lshl_add_u32 v22, v22, 1, v22
	v_sub_nc_u32_e32 v22, v64, v22
	v_mul_u32_u24_e32 v22, 0x28a, v22
	v_lshlrev_b32_e32 v91, 3, v22
	v_mul_lo_u16 v22, 0xcd, v23
	v_mul_lo_u16 v23, 0xcd, v24
	v_add_nc_u32_e32 v90, v21, v91
	v_lshrrev_b16 v30, 11, v22
	v_lshrrev_b16 v31, 11, v23
	v_add_nc_u32_e32 v21, 0x800, v90
	v_add_nc_u32_e32 v22, 0x1000, v90
	s_waitcnt vmcnt(11)
	v_mul_f32_e32 v23, v15, v74
	v_mul_f32_e32 v24, v14, v74
	s_waitcnt vmcnt(10)
	v_mul_f32_e32 v25, v17, v84
	v_mul_f32_e32 v26, v16, v84
	v_fmac_f32_e32 v23, v14, v73
	s_waitcnt vmcnt(9)
	v_mul_f32_e32 v14, v9, v68
	v_fma_f32 v24, v15, v73, -v24
	v_fmac_f32_e32 v25, v16, v83
	v_fma_f32 v26, v17, v83, -v26
	v_mul_f32_e32 v15, v8, v68
	s_waitcnt vmcnt(7)
	v_mul_f32_e32 v16, v7, v82
	v_fmac_f32_e32 v14, v8, v67
	v_mul_f32_e32 v8, v11, v70
	v_mul_f32_e32 v17, v10, v70
	;; [unrolled: 1-line block ×3, first 2 shown]
	v_fmac_f32_e32 v16, v6, v81
	v_fma_f32 v15, v9, v67, -v15
	v_fmac_f32_e32 v8, v10, v69
	v_fma_f32 v9, v11, v69, -v17
	v_fma_f32 v17, v7, v81, -v27
	s_waitcnt vmcnt(6)
	v_mul_f32_e32 v6, v3, v80
	v_mul_f32_e32 v7, v2, v80
	s_waitcnt vmcnt(5)
	v_mul_f32_e32 v10, v5, v76
	v_mul_f32_e32 v11, v4, v76
	v_fmac_f32_e32 v6, v2, v79
	v_fma_f32 v7, v3, v79, -v7
	s_waitcnt vmcnt(4)
	v_mul_f32_e32 v27, v0, v66
	v_mul_f32_e32 v2, v1, v66
	v_fmac_f32_e32 v10, v4, v75
	s_waitcnt vmcnt(2)
	v_mul_f32_e32 v4, v13, v72
	v_fma_f32 v11, v5, v75, -v11
	v_fma_f32 v3, v1, v65, -v27
	v_mul_f32_e32 v1, v12, v72
	s_waitcnt vmcnt(0)
	v_mul_f32_e32 v27, v19, v78
	v_mul_f32_e32 v28, v18, v78
	v_fmac_f32_e32 v2, v0, v65
	v_fmac_f32_e32 v4, v12, v71
	v_fma_f32 v5, v13, v71, -v1
	v_fmac_f32_e32 v27, v18, v77
	v_fma_f32 v28, v19, v77, -v28
	ds_write2_b64 v90, v[23:24], v[25:26] offset1:65
	ds_write2_b64 v90, v[14:15], v[8:9] offset0:130 offset1:195
	ds_write2_b64 v21, v[16:17], v[6:7] offset0:4 offset1:69
	;; [unrolled: 1-line block ×4, first 2 shown]
	v_mul_lo_u16 v16, v20, 10
	v_mul_lo_u16 v17, v30, 10
	;; [unrolled: 1-line block ×3, first 2 shown]
	v_mov_b32_e32 v19, 5
	s_waitcnt lgkmcnt(0)
	v_and_b32_e32 v16, 0xffff, v16
	v_sub_nc_u16 v32, v20, v17
	v_sub_nc_u16 v33, v29, v18
	s_barrier
	buffer_gl0_inv
	ds_read2_b64 v[0:3], v90 offset1:65
	ds_read2_b64 v[4:7], v90 offset0:130 offset1:195
	ds_read2_b64 v[8:11], v21 offset0:4 offset1:69
	;; [unrolled: 1-line block ×3, first 2 shown]
	v_lshl_add_u32 v94, v16, 3, v91
	v_lshlrev_b32_sdwa v23, v19, v32 dst_sel:DWORD dst_unused:UNUSED_PAD src0_sel:DWORD src1_sel:BYTE_0
	v_lshlrev_b32_sdwa v24, v19, v33 dst_sel:DWORD dst_unused:UNUSED_PAD src0_sel:DWORD src1_sel:BYTE_0
	ds_read2_b64 v[16:19], v22 offset0:8 offset1:73
	s_waitcnt lgkmcnt(0)
	s_barrier
	buffer_gl0_inv
	v_add_f32_e32 v34, v1, v5
	v_add_f32_e32 v38, v2, v6
	;; [unrolled: 1-line block ×5, first 2 shown]
	v_sub_f32_e32 v47, v7, v11
	v_sub_f32_e32 v48, v11, v7
	;; [unrolled: 1-line block ×3, first 2 shown]
	v_add_f32_e32 v52, v6, v18
	v_add_f32_e32 v7, v7, v19
	;; [unrolled: 1-line block ×3, first 2 shown]
	v_sub_f32_e32 v27, v9, v13
	v_add_f32_e32 v35, v9, v13
	v_sub_f32_e32 v37, v5, v9
	v_sub_f32_e32 v40, v9, v5
	;; [unrolled: 1-line block ×7, first 2 shown]
	v_add_f32_e32 v5, v5, v17
	v_add_f32_e32 v9, v34, v9
	;; [unrolled: 1-line block ×4, first 2 shown]
	v_fma_f32 v34, -0.5, v45, v3
	v_fmac_f32_e32 v3, -0.5, v7
	v_fma_f32 v39, -0.5, v52, v2
	v_fma_f32 v2, -0.5, v41, v2
	v_add_f32_e32 v26, v8, v12
	v_sub_f32_e32 v6, v6, v18
	v_sub_f32_e32 v28, v4, v8
	v_sub_f32_e32 v29, v8, v4
	v_sub_f32_e32 v36, v8, v12
	v_add_f32_e32 v50, v4, v16
	v_sub_f32_e32 v53, v16, v12
	v_sub_f32_e32 v54, v12, v16
	;; [unrolled: 1-line block ×7, first 2 shown]
	v_add_f32_e32 v8, v25, v8
	v_fma_f32 v35, -0.5, v35, v1
	v_fma_f32 v45, -0.5, v5, v1
	v_add_f32_e32 v1, v9, v13
	v_add_f32_e32 v7, v10, v14
	v_fmamk_f32 v9, v42, 0xbf737871, v39
	v_fmac_f32_e32 v39, 0x3f737871, v42
	v_fmamk_f32 v10, v46, 0x3f737871, v3
	v_fmamk_f32 v13, v51, 0x3f737871, v2
	v_fma_f32 v26, -0.5, v26, v0
	v_fmac_f32_e32 v3, 0xbf737871, v46
	v_fmac_f32_e32 v2, 0xbf737871, v51
	v_sub_f32_e32 v59, v19, v15
	v_fmamk_f32 v14, v6, 0xbf737871, v34
	v_fmac_f32_e32 v34, 0x3f737871, v6
	v_sub_f32_e32 v4, v4, v16
	v_add_f32_e32 v25, v44, v58
	v_add_f32_e32 v38, v48, v60
	v_fma_f32 v44, -0.5, v50, v0
	v_add_f32_e32 v5, v28, v53
	v_add_f32_e32 v28, v29, v54
	;; [unrolled: 1-line block ×5, first 2 shown]
	v_fmac_f32_e32 v39, 0xbf167918, v51
	v_fmac_f32_e32 v13, 0x3f167918, v42
	v_fmac_f32_e32 v10, 0xbf167918, v6
	v_fmamk_f32 v11, v49, 0x3f737871, v26
	v_fmac_f32_e32 v26, 0xbf737871, v49
	v_fmac_f32_e32 v3, 0x3f167918, v6
	v_fmac_f32_e32 v2, 0xbf167918, v42
	v_fmac_f32_e32 v9, 0x3f167918, v51
	v_add_f32_e32 v41, v47, v59
	v_fmac_f32_e32 v34, 0x3f167918, v46
	v_fmamk_f32 v12, v27, 0xbf737871, v44
	v_fmac_f32_e32 v44, 0x3f737871, v27
	v_fmamk_f32 v15, v4, 0xbf737871, v35
	v_fmamk_f32 v43, v36, 0x3f737871, v45
	v_fmac_f32_e32 v45, 0xbf737871, v36
	v_add_f32_e32 v16, v0, v16
	v_add_f32_e32 v17, v1, v17
	;; [unrolled: 1-line block ×4, first 2 shown]
	v_fmac_f32_e32 v14, 0xbf167918, v46
	v_fmac_f32_e32 v39, 0x3e9e377a, v25
	;; [unrolled: 1-line block ×11, first 2 shown]
	v_add_f32_e32 v37, v37, v55
	v_fmac_f32_e32 v12, 0x3f167918, v49
	v_fmac_f32_e32 v44, 0xbf167918, v49
	;; [unrolled: 1-line block ×5, first 2 shown]
	v_add_f32_e32 v0, v16, v7
	v_add_f32_e32 v1, v17, v8
	v_sub_f32_e32 v6, v16, v7
	v_sub_f32_e32 v7, v17, v8
	v_fmac_f32_e32 v14, 0x3e9e377a, v41
	v_mul_f32_e32 v4, 0x3e9e377a, v39
	v_mul_f32_e32 v8, 0x3f4f1bbd, v13
	;; [unrolled: 1-line block ×4, first 2 shown]
	v_add_f32_e32 v40, v40, v56
	v_fmac_f32_e32 v11, 0x3e9e377a, v5
	v_fmac_f32_e32 v26, 0x3e9e377a, v5
	v_mul_f32_e32 v5, 0x3e9e377a, v3
	v_mul_f32_e32 v17, 0x3f4f1bbd, v2
	;; [unrolled: 1-line block ×3, first 2 shown]
	v_fmac_f32_e32 v35, 0x3f167918, v36
	v_mul_f32_e32 v18, 0x3f4f1bbd, v34
	v_fmac_f32_e32 v12, 0x3e9e377a, v28
	v_fmac_f32_e32 v44, 0x3e9e377a, v28
	;; [unrolled: 1-line block ×3, first 2 shown]
	v_fma_f32 v3, 0x3f737871, v3, -v4
	v_fmac_f32_e32 v8, 0x3f167918, v14
	v_fmac_f32_e32 v16, 0x3e9e377a, v9
	;; [unrolled: 1-line block ×5, first 2 shown]
	v_fma_f32 v9, 0x3f167918, v34, -v17
	v_fmac_f32_e32 v19, 0x3e9e377a, v10
	v_fma_f32 v17, 0xbf737871, v39, -v5
	v_fmac_f32_e32 v35, 0x3e9e377a, v37
	v_fma_f32 v25, 0xbf167918, v2, -v18
	v_add_f32_e32 v2, v11, v8
	v_sub_f32_e32 v10, v12, v16
	v_add_f32_e32 v12, v12, v16
	v_add_f32_e32 v14, v44, v3
	v_sub_f32_e32 v16, v44, v3
	v_add_f32_e32 v3, v15, v13
	v_add_f32_e32 v4, v26, v9
	v_sub_f32_e32 v18, v26, v9
	v_sub_f32_e32 v9, v15, v13
	v_add_f32_e32 v13, v43, v19
	v_add_f32_e32 v15, v45, v17
	;; [unrolled: 1-line block ×3, first 2 shown]
	v_sub_f32_e32 v8, v11, v8
	v_sub_f32_e32 v11, v43, v19
	;; [unrolled: 1-line block ×4, first 2 shown]
	ds_write_b128 v94, v[0:3]
	ds_write_b128 v94, v[12:15] offset:16
	ds_write_b128 v94, v[4:7] offset:32
	;; [unrolled: 1-line block ×4, first 2 shown]
	s_waitcnt lgkmcnt(0)
	s_barrier
	buffer_gl0_inv
	s_clause 0x3
	global_load_dwordx4 v[4:7], v23, s[2:3]
	global_load_dwordx4 v[0:3], v24, s[2:3]
	global_load_dwordx4 v[12:15], v23, s[2:3] offset:16
	global_load_dwordx4 v[8:11], v24, s[2:3] offset:16
	v_mov_b32_e32 v27, 50
	ds_read2_b64 v[16:19], v90 offset0:130 offset1:195
	ds_read2_b64 v[23:26], v21 offset0:4 offset1:69
	ds_read2_b64 v[38:41], v90 offset1:65
	v_mul_u32_u24_sdwa v34, v30, v27 dst_sel:DWORD dst_unused:UNUSED_PAD src0_sel:WORD_0 src1_sel:DWORD
	v_mul_u32_u24_sdwa v31, v31, v27 dst_sel:DWORD dst_unused:UNUSED_PAD src0_sel:WORD_0 src1_sel:DWORD
	ds_read2_b64 v[27:30], v21 offset0:134 offset1:199
	v_add_nc_u32_sdwa v35, v34, v32 dst_sel:DWORD dst_unused:UNUSED_PAD src0_sel:DWORD src1_sel:BYTE_0
	v_add_nc_u32_sdwa v36, v31, v33 dst_sel:DWORD dst_unused:UNUSED_PAD src0_sel:DWORD src1_sel:BYTE_0
	ds_read2_b64 v[31:34], v22 offset0:8 offset1:73
	s_waitcnt vmcnt(0) lgkmcnt(0)
	s_barrier
	v_lshl_add_u32 v96, v35, 3, v91
	v_lshl_add_u32 v95, v36, 3, v91
	buffer_gl0_inv
	v_mul_f32_e32 v20, v17, v5
	v_mul_f32_e32 v22, v16, v5
	;; [unrolled: 1-line block ×16, first 2 shown]
	v_fma_f32 v16, v16, v4, -v20
	v_fmac_f32_e32 v22, v17, v4
	v_fma_f32 v17, v18, v0, -v35
	v_fmac_f32_e32 v36, v19, v0
	;; [unrolled: 2-line block ×8, first 2 shown]
	v_add_f32_e32 v26, v38, v16
	v_add_f32_e32 v27, v39, v22
	;; [unrolled: 1-line block ×3, first 2 shown]
	v_sub_f32_e32 v29, v16, v18
	v_sub_f32_e32 v30, v18, v16
	;; [unrolled: 1-line block ×4, first 2 shown]
	v_add_f32_e32 v34, v16, v24
	v_add_f32_e32 v37, v42, v46
	v_sub_f32_e32 v43, v22, v42
	v_sub_f32_e32 v45, v42, v22
	;; [unrolled: 1-line block ×3, first 2 shown]
	v_add_f32_e32 v22, v22, v51
	v_sub_f32_e32 v47, v51, v46
	v_add_f32_e32 v48, v40, v17
	v_add_f32_e32 v49, v41, v36
	;; [unrolled: 1-line block ×5, first 2 shown]
	v_sub_f32_e32 v97, v36, v44
	v_sub_f32_e32 v98, v44, v36
	;; [unrolled: 1-line block ×3, first 2 shown]
	v_add_f32_e32 v36, v36, v60
	v_sub_f32_e32 v31, v18, v20
	v_sub_f32_e32 v16, v16, v24
	;; [unrolled: 1-line block ×11, first 2 shown]
	v_add_f32_e32 v18, v26, v18
	v_add_f32_e32 v26, v27, v42
	;; [unrolled: 1-line block ×4, first 2 shown]
	v_fma_f32 v48, -0.5, v28, v38
	v_add_f32_e32 v28, v29, v32
	v_add_f32_e32 v29, v30, v33
	v_fma_f32 v49, -0.5, v37, v39
	v_add_f32_e32 v30, v43, v47
	v_fma_f32 v54, -0.5, v34, v38
	v_fma_f32 v55, -0.5, v22, v39
	;; [unrolled: 1-line block ×5, first 2 shown]
	v_fmac_f32_e32 v41, -0.5, v36
	v_sub_f32_e32 v100, v60, v50
	v_sub_f32_e32 v101, v50, v60
	v_add_f32_e32 v22, v45, v52
	v_add_f32_e32 v32, v56, v58
	v_add_f32_e32 v33, v57, v59
	v_add_f32_e32 v18, v18, v20
	v_add_f32_e32 v20, v26, v46
	v_fmamk_f32 v46, v61, 0x3f737871, v48
	v_fmac_f32_e32 v48, 0xbf737871, v61
	v_fmamk_f32 v52, v35, 0xbf737871, v54
	v_fmac_f32_e32 v54, 0x3f737871, v35
	;; [unrolled: 2-line block ×8, first 2 shown]
	v_add_f32_e32 v34, v97, v100
	v_add_f32_e32 v36, v98, v101
	;; [unrolled: 1-line block ×4, first 2 shown]
	v_fmac_f32_e32 v46, 0x3f167918, v35
	v_fmac_f32_e32 v48, 0xbf167918, v35
	;; [unrolled: 1-line block ×16, first 2 shown]
	v_add_f32_e32 v44, v18, v24
	v_add_f32_e32 v45, v20, v51
	;; [unrolled: 1-line block ×4, first 2 shown]
	v_fmac_f32_e32 v46, 0x3e9e377a, v28
	v_fmac_f32_e32 v48, 0x3e9e377a, v28
	;; [unrolled: 1-line block ×16, first 2 shown]
	ds_write2_b64 v96, v[44:45], v[46:47] offset1:10
	ds_write2_b64 v96, v[52:53], v[54:55] offset0:20 offset1:30
	ds_write_b64 v96, v[48:49] offset:320
	ds_write2_b64 v95, v[50:51], v[56:57] offset1:10
	ds_write2_b64 v95, v[58:59], v[40:41] offset0:20 offset1:30
	ds_write_b64 v95, v[42:43] offset:320
	s_waitcnt lgkmcnt(0)
	s_barrier
	buffer_gl0_inv
                                        ; implicit-def: $vgpr87
                                        ; implicit-def: $vgpr60
	s_and_saveexec_b32 s0, vcc_lo
	s_cbranch_execz .LBB0_3
; %bb.2:
	v_add_nc_u32_e32 v16, 0xc00, v90
	ds_read2_b64 v[44:47], v90 offset1:50
	ds_read2_b64 v[40:43], v21 offset0:144 offset1:194
	ds_read2_b64 v[52:55], v90 offset0:100 offset1:150
	;; [unrolled: 1-line block ×4, first 2 shown]
	ds_read_b64 v[87:88], v90 offset:4800
	ds_read2_b64 v[60:63], v16 offset0:116 offset1:166
.LBB0_3:
	s_or_b32 exec_lo, exec_lo, s0
	v_subrev_nc_u32_e32 v16, 50, v89
	v_cndmask_b32_e32 v16, v16, v89, vcc_lo
	v_mul_i32_i24_e32 v17, 0x60, v16
	v_mul_hi_i32_i24_e32 v16, 0x60, v16
	v_add_co_u32 v36, s0, s2, v17
	v_add_co_ci_u32_e64 v37, s0, s3, v16, s0
	s_clause 0x5
	global_load_dwordx4 v[32:35], v[36:37], off offset:320
	global_load_dwordx4 v[24:27], v[36:37], off offset:336
	;; [unrolled: 1-line block ×6, first 2 shown]
	s_waitcnt vmcnt(5) lgkmcnt(6)
	v_mul_f32_e32 v102, v47, v33
	v_mul_f32_e32 v113, v46, v33
	s_waitcnt vmcnt(3) lgkmcnt(3)
	v_mul_f32_e32 v105, v50, v21
	v_mul_f32_e32 v107, v53, v35
	;; [unrolled: 1-line block ×3, first 2 shown]
	s_waitcnt vmcnt(0) lgkmcnt(1)
	v_mul_f32_e32 v125, v88, v39
	v_mul_f32_e32 v97, v87, v39
	;; [unrolled: 1-line block ×3, first 2 shown]
	s_waitcnt lgkmcnt(0)
	v_mul_f32_e32 v123, v61, v31
	v_mul_f32_e32 v124, v63, v37
	;; [unrolled: 1-line block ×3, first 2 shown]
	v_fma_f32 v118, v46, v32, -v102
	v_fmac_f32_e32 v113, v47, v32
	v_fmac_f32_e32 v105, v51, v20
	v_fma_f32 v51, v87, v38, -v125
	v_fmac_f32_e32 v97, v88, v38
	v_mul_f32_e32 v108, v55, v25
	v_mul_f32_e32 v109, v54, v25
	;; [unrolled: 1-line block ×3, first 2 shown]
	v_fma_f32 v117, v52, v34, -v107
	v_fmac_f32_e32 v111, v53, v34
	v_fma_f32 v102, v60, v30, -v123
	v_fma_f32 v60, v62, v36, -v124
	v_fmac_f32_e32 v100, v63, v36
	v_sub_f32_e32 v129, v118, v51
	v_sub_f32_e32 v127, v113, v97
	v_mul_f32_e32 v110, v49, v27
	v_mul_f32_e32 v106, v48, v27
	;; [unrolled: 1-line block ×6, first 2 shown]
	v_fma_f32 v116, v54, v24, -v108
	v_fmac_f32_e32 v109, v55, v24
	v_fmac_f32_e32 v99, v61, v30
	v_add_f32_e32 v46, v118, v51
	v_add_f32_e32 v47, v113, v97
	v_sub_f32_e32 v132, v117, v60
	v_sub_f32_e32 v128, v111, v100
	v_mul_f32_e32 v125, 0xbeedf032, v127
	v_mul_f32_e32 v126, 0xbeedf032, v129
	v_mul_f32_e32 v141, 0xbf52af12, v127
	v_mul_f32_e32 v149, 0xbf52af12, v129
	v_mul_f32_e32 v156, 0xbf7e222b, v127
	v_mul_f32_e32 v162, 0xbf7e222b, v129
	v_fma_f32 v115, v48, v26, -v110
	v_fmac_f32_e32 v106, v49, v26
	v_fma_f32 v108, v40, v18, -v121
	v_fmac_f32_e32 v101, v41, v18
	;; [unrolled: 2-line block ×3, first 2 shown]
	v_add_f32_e32 v48, v117, v60
	v_add_f32_e32 v49, v111, v100
	v_sub_f32_e32 v137, v116, v102
	v_sub_f32_e32 v130, v109, v99
	v_mul_f32_e32 v122, 0xbf52af12, v128
	v_mul_f32_e32 v124, 0xbf52af12, v132
	;; [unrolled: 1-line block ×6, first 2 shown]
	v_fmamk_f32 v40, v46, 0x3f62ad3f, v125
	v_fma_f32 v41, 0x3f62ad3f, v47, -v126
	v_fmamk_f32 v169, v46, 0x3f116cb1, v141
	v_fma_f32 v171, 0x3f116cb1, v47, -v149
	;; [unrolled: 2-line block ×3, first 2 shown]
	v_mul_f32_e32 v119, v57, v23
	v_mul_f32_e32 v104, v56, v23
	;; [unrolled: 1-line block ×4, first 2 shown]
	v_fma_f32 v114, v50, v20, -v112
	v_add_f32_e32 v50, v116, v102
	v_add_f32_e32 v54, v109, v99
	v_sub_f32_e32 v138, v115, v107
	v_sub_f32_e32 v131, v106, v98
	v_mul_f32_e32 v121, 0xbf7e222b, v130
	v_mul_f32_e32 v123, 0xbf7e222b, v137
	;; [unrolled: 1-line block ×6, first 2 shown]
	v_fmamk_f32 v42, v48, 0x3f116cb1, v122
	v_fma_f32 v43, 0x3f116cb1, v49, -v124
	v_fmamk_f32 v170, v48, 0xbeb58ec6, v140
	v_fma_f32 v172, 0xbeb58ec6, v49, -v145
	;; [unrolled: 2-line block ×3, first 2 shown]
	v_add_f32_e32 v40, v44, v40
	v_add_f32_e32 v41, v45, v41
	;; [unrolled: 1-line block ×6, first 2 shown]
	v_fma_f32 v112, v56, v22, -v119
	v_fmac_f32_e32 v104, v57, v22
	v_fma_f32 v110, v58, v16, -v120
	v_fmac_f32_e32 v103, v59, v16
	v_add_f32_e32 v55, v115, v107
	v_add_f32_e32 v56, v106, v98
	v_sub_f32_e32 v144, v114, v108
	v_sub_f32_e32 v135, v105, v101
	v_mul_f32_e32 v119, 0xbf6f5d39, v131
	v_mul_f32_e32 v120, 0xbf6f5d39, v138
	;; [unrolled: 1-line block ×6, first 2 shown]
	v_fmamk_f32 v52, v50, 0x3df6dbef, v121
	v_fma_f32 v53, 0x3df6dbef, v54, -v123
	v_fmamk_f32 v173, v50, 0xbf788fa5, v142
	v_fma_f32 v174, 0xbf788fa5, v54, -v146
	v_fmamk_f32 v183, v50, 0xbeb58ec6, v154
	v_fma_f32 v189, 0xbeb58ec6, v54, -v160
	v_add_f32_e32 v40, v42, v40
	v_add_f32_e32 v41, v43, v41
	;; [unrolled: 1-line block ×8, first 2 shown]
	v_sub_f32_e32 v139, v104, v103
	v_sub_f32_e32 v150, v112, v110
	v_mul_f32_e32 v63, 0xbf29c268, v135
	v_mul_f32_e32 v87, 0xbf29c268, v144
	;; [unrolled: 1-line block ×6, first 2 shown]
	v_fmamk_f32 v163, v55, 0xbeb58ec6, v119
	v_fma_f32 v164, 0xbeb58ec6, v56, -v120
	v_fmamk_f32 v175, v55, 0xbf3f9e67, v143
	v_fma_f32 v176, 0xbf3f9e67, v56, -v147
	;; [unrolled: 2-line block ×3, first 2 shown]
	v_add_f32_e32 v40, v52, v40
	v_add_f32_e32 v41, v53, v41
	;; [unrolled: 1-line block ×8, first 2 shown]
	v_mul_f32_e32 v62, 0xbe750f2a, v139
	v_mul_f32_e32 v88, 0xbe750f2a, v150
	;; [unrolled: 1-line block ×6, first 2 shown]
	v_fmamk_f32 v165, v57, 0xbf3f9e67, v63
	v_fma_f32 v166, 0xbf3f9e67, v58, -v87
	v_fmamk_f32 v177, v57, 0x3df6dbef, v133
	v_fma_f32 v178, 0x3df6dbef, v58, -v148
	v_fmamk_f32 v185, v57, 0x3f116cb1, v152
	v_fma_f32 v191, 0x3f116cb1, v58, -v158
	v_add_f32_e32 v40, v163, v40
	v_add_f32_e32 v41, v164, v41
	;; [unrolled: 1-line block ×6, first 2 shown]
	v_fmamk_f32 v167, v59, 0xbf788fa5, v62
	v_fma_f32 v168, 0xbf788fa5, v61, -v88
	v_fmamk_f32 v179, v59, 0x3f62ad3f, v134
	v_fma_f32 v180, 0x3f62ad3f, v61, -v136
	;; [unrolled: 2-line block ×3, first 2 shown]
	v_add_f32_e32 v40, v165, v40
	v_add_f32_e32 v41, v166, v41
	;; [unrolled: 1-line block ×12, first 2 shown]
	s_and_saveexec_b32 s0, vcc_lo
	s_cbranch_execz .LBB0_5
; %bb.4:
	v_mul_f32_e32 v193, 0xbe750f2a, v129
	v_mul_f32_e32 v198, 0x3eedf032, v132
	;; [unrolled: 1-line block ×5, first 2 shown]
	v_fmamk_f32 v163, v47, 0xbf788fa5, v193
	v_fmamk_f32 v164, v49, 0x3f62ad3f, v198
	v_mul_f32_e32 v208, 0x3eedf032, v128
	v_fma_f32 v165, 0xbf788fa5, v46, -v205
	v_mul_f32_e32 v209, 0xbf6f5d39, v144
	v_add_f32_e32 v163, v45, v163
	v_mul_f32_e32 v210, 0xbf29c268, v130
	v_fma_f32 v166, 0x3f62ad3f, v48, -v208
	v_add_f32_e32 v165, v44, v165
	v_mul_f32_e32 v211, 0x3f7e222b, v150
	v_add_f32_e32 v163, v164, v163
	v_fmamk_f32 v164, v54, 0xbf3f9e67, v202
	v_mul_f32_e32 v212, 0x3f52af12, v131
	v_add_f32_e32 v165, v166, v165
	v_fma_f32 v166, 0xbf3f9e67, v50, -v210
	v_mul_f32_e32 v213, 0xbf29c268, v129
	v_add_f32_e32 v163, v164, v163
	v_fmamk_f32 v164, v56, 0x3f116cb1, v206
	v_mul_f32_e32 v214, 0xbf6f5d39, v135
	v_add_f32_e32 v165, v166, v165
	v_fma_f32 v166, 0x3f116cb1, v55, -v212
	;; [unrolled: 6-line block ×3, first 2 shown]
	v_fmamk_f32 v217, v49, 0x3df6dbef, v215
	v_add_f32_e32 v163, v164, v163
	v_fmamk_f32 v164, v61, 0x3df6dbef, v211
	v_mul_f32_e32 v218, 0xbf52af12, v137
	v_add_f32_e32 v165, v166, v165
	v_fma_f32 v166, 0x3df6dbef, v59, -v216
	v_mul_f32_e32 v219, 0xbf29c268, v127
	v_add_f32_e32 v164, v164, v163
	v_fmamk_f32 v163, v47, 0xbf3f9e67, v213
	v_fmamk_f32 v220, v54, 0x3f116cb1, v218
	v_mul_f32_e32 v221, 0x3e750f2a, v138
	v_mul_f32_e32 v222, 0x3f7e222b, v128
	;; [unrolled: 1-line block ×3, first 2 shown]
	v_add_f32_e32 v163, v45, v163
	v_mul_f32_e32 v225, 0xbf6f5d39, v150
	v_mul_f32_e32 v226, 0x3e750f2a, v131
	v_fma_f32 v223, 0x3df6dbef, v48, -v222
	v_mul_f32_e32 v227, 0xbf6f5d39, v129
	v_add_f32_e32 v217, v217, v163
	v_add_f32_e32 v163, v166, v165
	v_fma_f32 v165, 0xbf3f9e67, v46, -v219
	v_mul_f32_e32 v228, 0x3f29c268, v132
	v_mul_f32_e32 v229, 0xbf6f5d39, v139
	v_add_f32_e32 v166, v220, v217
	v_fmamk_f32 v217, v56, 0xbf788fa5, v221
	v_mul_f32_e32 v220, 0x3eedf032, v144
	v_add_f32_e32 v165, v44, v165
	v_mul_f32_e32 v137, 0x3eedf032, v137
	v_mul_f32_e32 v230, 0xbf6f5d39, v127
	v_add_f32_e32 v166, v217, v166
	v_fmamk_f32 v217, v58, 0x3f62ad3f, v220
	v_add_f32_e32 v165, v223, v165
	v_fma_f32 v223, 0x3f116cb1, v50, -v224
	v_mul_f32_e32 v138, 0xbf7e222b, v138
	v_mul_f32_e32 v172, 0x3df6dbef, v47
	v_add_f32_e32 v166, v217, v166
	v_fmamk_f32 v217, v61, 0xbeb58ec6, v225
	v_add_f32_e32 v129, v223, v165
	v_fma_f32 v165, 0xbf788fa5, v55, -v226
	;; [unrolled: 6-line block ×3, first 2 shown]
	v_fmamk_f32 v128, v56, 0x3df6dbef, v138
	v_mul_f32_e32 v178, 0xbf788fa5, v49
	v_add_f32_e32 v165, v45, v217
	v_fmamk_f32 v217, v49, 0xbf3f9e67, v228
	v_add_f32_e32 v129, v132, v129
	v_fma_f32 v132, 0xbeb58ec6, v59, -v229
	v_mul_f32_e32 v144, 0x3e750f2a, v144
	v_mul_f32_e32 v184, 0xbeb58ec6, v54
	v_add_f32_e32 v127, v217, v165
	v_fmamk_f32 v217, v54, 0x3f62ad3f, v137
	v_add_f32_e32 v165, v132, v129
	v_fma_f32 v129, 0xbeb58ec6, v46, -v230
	v_fma_f32 v132, 0xbf3f9e67, v48, -v231
	v_mul_f32_e32 v171, 0x3df6dbef, v46
	v_add_f32_e32 v127, v217, v127
	v_mul_f32_e32 v217, 0x3eedf032, v130
	v_add_f32_e32 v129, v44, v129
	v_fmamk_f32 v130, v58, 0xbf788fa5, v144
	v_mul_f32_e32 v190, 0x3f62ad3f, v56
	v_add_f32_e32 v127, v128, v127
	v_add_f32_e32 v128, v162, v172
	;; [unrolled: 1-line block ×3, first 2 shown]
	v_fma_f32 v132, 0x3f62ad3f, v50, -v217
	v_mul_f32_e32 v162, 0xbf7e222b, v131
	v_add_f32_e32 v131, v161, v178
	v_add_f32_e32 v128, v45, v128
	;; [unrolled: 1-line block ×4, first 2 shown]
	v_fma_f32 v130, 0x3df6dbef, v55, -v162
	v_mul_f32_e32 v135, 0x3e750f2a, v135
	v_add_f32_e32 v128, v131, v128
	v_add_f32_e32 v131, v160, v184
	v_mul_f32_e32 v177, 0xbf788fa5, v48
	v_mul_f32_e32 v197, 0x3f116cb1, v58
	;; [unrolled: 1-line block ×3, first 2 shown]
	v_add_f32_e32 v129, v130, v129
	v_fma_f32 v130, 0xbf788fa5, v57, -v135
	v_mul_f32_e32 v139, 0x3f52af12, v139
	v_add_f32_e32 v128, v131, v128
	v_add_f32_e32 v131, v159, v190
	v_sub_f32_e32 v156, v171, v156
	v_mul_f32_e32 v169, 0x3f116cb1, v46
	v_mul_f32_e32 v170, 0x3f116cb1, v47
	;; [unrolled: 1-line block ×3, first 2 shown]
	v_fmamk_f32 v132, v61, 0x3f116cb1, v150
	v_add_f32_e32 v129, v130, v129
	v_fma_f32 v130, 0x3f116cb1, v59, -v139
	v_add_f32_e32 v131, v131, v128
	v_add_f32_e32 v158, v158, v197
	;; [unrolled: 1-line block ×3, first 2 shown]
	v_sub_f32_e32 v155, v177, v155
	v_mul_f32_e32 v175, 0xbeb58ec6, v48
	v_mul_f32_e32 v176, 0xbeb58ec6, v49
	;; [unrolled: 1-line block ×3, first 2 shown]
	v_add_f32_e32 v128, v132, v127
	v_add_f32_e32 v127, v130, v129
	;; [unrolled: 1-line block ×5, first 2 shown]
	v_sub_f32_e32 v132, v183, v154
	v_sub_f32_e32 v141, v169, v141
	v_mul_f32_e32 v181, 0xbf788fa5, v50
	v_mul_f32_e32 v182, 0xbf788fa5, v54
	;; [unrolled: 1-line block ×4, first 2 shown]
	v_add_f32_e32 v130, v45, v130
	v_add_f32_e32 v145, v145, v176
	;; [unrolled: 1-line block ×3, first 2 shown]
	v_sub_f32_e32 v132, v189, v153
	v_add_f32_e32 v141, v44, v141
	v_sub_f32_e32 v140, v175, v140
	v_add_f32_e32 v113, v45, v113
	v_mul_f32_e32 v187, 0xbf3f9e67, v55
	v_add_f32_e32 v149, v157, v207
	v_add_f32_e32 v130, v145, v130
	;; [unrolled: 1-line block ×4, first 2 shown]
	v_sub_f32_e32 v132, v196, v152
	v_add_f32_e32 v140, v140, v141
	v_sub_f32_e32 v141, v181, v142
	v_add_f32_e32 v111, v113, v111
	v_mul_f32_e32 v194, 0x3df6dbef, v57
	v_add_f32_e32 v142, v145, v130
	v_add_f32_e32 v130, v149, v129
	;; [unrolled: 1-line block ×4, first 2 shown]
	v_sub_f32_e32 v132, v187, v143
	v_add_f32_e32 v109, v111, v109
	v_add_f32_e32 v111, v44, v118
	v_mul_f32_e32 v168, 0x3f62ad3f, v47
	v_mul_f32_e32 v201, 0x3f62ad3f, v59
	v_add_f32_e32 v131, v132, v131
	v_sub_f32_e32 v132, v194, v133
	v_add_f32_e32 v106, v109, v106
	v_add_f32_e32 v109, v111, v117
	v_mul_f32_e32 v167, 0x3f62ad3f, v46
	v_mul_f32_e32 v174, 0x3f116cb1, v49
	v_add_f32_e32 v113, v132, v131
	v_sub_f32_e32 v131, v201, v134
	v_add_f32_e32 v118, v126, v168
	v_add_f32_e32 v105, v106, v105
	v_add_f32_e32 v106, v109, v116
	v_mul_f32_e32 v173, 0x3f116cb1, v48
	v_mul_f32_e32 v180, 0x3df6dbef, v54
	v_add_f32_e32 v131, v131, v113
	v_sub_f32_e32 v113, v167, v125
	v_add_f32_e32 v111, v45, v118
	v_add_f32_e32 v117, v124, v174
	v_add_f32_e32 v104, v105, v104
	v_add_f32_e32 v105, v106, v115
	v_mul_f32_e32 v179, 0x3df6dbef, v50
	v_mul_f32_e32 v186, 0xbeb58ec6, v56
	v_add_f32_e32 v113, v44, v113
	v_sub_f32_e32 v109, v173, v122
	v_add_f32_e32 v111, v117, v111
	;; [unrolled: 8-line block ×4, first 2 shown]
	v_add_f32_e32 v87, v87, v192
	v_add_f32_e32 v98, v101, v98
	;; [unrolled: 1-line block ×4, first 2 shown]
	v_sub_f32_e32 v63, v191, v63
	v_add_f32_e32 v87, v87, v104
	v_add_f32_e32 v88, v88, v200
	;; [unrolled: 1-line block ×5, first 2 shown]
	v_fmac_f32_e32 v205, 0xbf788fa5, v46
	v_add_f32_e32 v63, v88, v87
	v_add_f32_e32 v87, v98, v100
	;; [unrolled: 1-line block ×3, first 2 shown]
	v_fma_f32 v99, 0xbf788fa5, v47, -v193
	v_fmac_f32_e32 v219, 0xbf3f9e67, v46
	v_fmac_f32_e32 v230, 0xbeb58ec6, v46
	v_add_f32_e32 v88, v87, v97
	v_add_f32_e32 v87, v98, v102
	;; [unrolled: 1-line block ×3, first 2 shown]
	v_fma_f32 v98, 0x3f62ad3f, v49, -v198
	v_add_f32_e32 v99, v44, v205
	v_fmac_f32_e32 v208, 0x3f62ad3f, v48
	v_add_f32_e32 v60, v87, v60
	v_fma_f32 v87, 0xbf3f9e67, v47, -v213
	v_fma_f32 v47, 0xbeb58ec6, v47, -v227
	;; [unrolled: 1-line block ×3, first 2 shown]
	v_add_f32_e32 v46, v44, v219
	v_fmac_f32_e32 v222, 0x3df6dbef, v48
	v_add_f32_e32 v87, v45, v87
	v_add_f32_e32 v45, v45, v47
	v_fma_f32 v47, 0xbf3f9e67, v49, -v228
	v_add_f32_e32 v44, v44, v230
	v_fmac_f32_e32 v231, 0xbf3f9e67, v48
	v_mul_f32_e32 v188, 0xbf3f9e67, v56
	v_mul_f32_e32 v199, 0xbf788fa5, v59
	v_add_f32_e32 v45, v47, v45
	v_fma_f32 v47, 0x3f62ad3f, v54, -v137
	v_add_f32_e32 v97, v98, v97
	v_fma_f32 v98, 0xbf3f9e67, v54, -v202
	v_add_f32_e32 v99, v208, v99
	v_fmac_f32_e32 v210, 0xbf3f9e67, v50
	v_add_f32_e32 v87, v100, v87
	v_fma_f32 v100, 0x3f116cb1, v54, -v218
	v_add_f32_e32 v46, v222, v46
	v_fmac_f32_e32 v224, 0x3f116cb1, v50
	v_add_f32_e32 v44, v231, v44
	v_fmac_f32_e32 v217, 0x3f62ad3f, v50
	v_mul_f32_e32 v195, 0x3df6dbef, v58
	v_add_f32_e32 v145, v147, v188
	v_add_f32_e32 v45, v47, v45
	v_fma_f32 v47, 0x3df6dbef, v56, -v138
	v_sub_f32_e32 v62, v199, v62
	v_add_f32_e32 v97, v98, v97
	v_fma_f32 v98, 0x3f116cb1, v56, -v206
	v_add_f32_e32 v99, v210, v99
	v_fmac_f32_e32 v212, 0x3f116cb1, v55
	v_add_f32_e32 v87, v100, v87
	v_fma_f32 v100, 0xbf788fa5, v56, -v221
	v_add_f32_e32 v46, v224, v46
	v_fmac_f32_e32 v226, 0xbf788fa5, v55
	v_add_f32_e32 v44, v217, v44
	v_fmac_f32_e32 v162, 0x3df6dbef, v55
	v_mul_f32_e32 v203, 0x3f62ad3f, v61
	v_mul_f32_e32 v204, 0xbf3f9e67, v59
	v_add_f32_e32 v140, v145, v142
	v_add_f32_e32 v141, v148, v195
	;; [unrolled: 1-line block ×3, first 2 shown]
	v_fma_f32 v47, 0xbf788fa5, v58, -v144
	v_add_f32_e32 v62, v62, v101
	v_add_f32_e32 v97, v98, v97
	v_fma_f32 v98, 0xbeb58ec6, v58, -v209
	v_add_f32_e32 v99, v212, v99
	v_fmac_f32_e32 v214, 0xbeb58ec6, v57
	v_add_f32_e32 v100, v100, v87
	v_fma_f32 v101, 0x3f62ad3f, v58, -v220
	v_add_f32_e32 v46, v226, v46
	v_fmac_f32_e32 v223, 0x3f62ad3f, v57
	v_add_f32_e32 v44, v162, v44
	v_fmac_f32_e32 v135, 0xbf788fa5, v57
	v_sub_f32_e32 v142, v204, v151
	v_add_f32_e32 v133, v141, v140
	v_add_f32_e32 v136, v136, v203
	;; [unrolled: 1-line block ×3, first 2 shown]
	v_fma_f32 v48, 0x3f116cb1, v61, -v150
	v_lshl_add_u32 v50, v89, 3, v91
	v_add_f32_e32 v97, v98, v97
	v_fma_f32 v98, 0x3df6dbef, v61, -v211
	v_add_f32_e32 v99, v214, v99
	v_fmac_f32_e32 v216, 0x3df6dbef, v59
	v_add_f32_e32 v87, v60, v51
	v_add_f32_e32 v51, v101, v100
	v_fma_f32 v60, 0xbeb58ec6, v61, -v225
	v_add_f32_e32 v46, v223, v46
	v_fmac_f32_e32 v229, 0xbeb58ec6, v59
	v_add_f32_e32 v49, v135, v44
	v_fmac_f32_e32 v139, 0x3f116cb1, v59
	v_add_f32_e32 v129, v142, v129
	v_add_f32_e32 v132, v136, v133
	;; [unrolled: 1-line block ×3, first 2 shown]
	v_add_nc_u32_e32 v48, 0x400, v50
	v_add_f32_e32 v98, v98, v97
	v_add_f32_e32 v97, v216, v99
	;; [unrolled: 1-line block ×5, first 2 shown]
	v_add_nc_u32_e32 v49, 0x800, v50
	v_add_nc_u32_e32 v51, 0x1000, v50
	ds_write_b64 v90, v[87:88]
	ds_write2_b64 v50, v[62:63], v[131:132] offset0:50 offset1:100
	ds_write2_b64 v50, v[129:130], v[127:128] offset0:150 offset1:200
	;; [unrolled: 1-line block ×6, first 2 shown]
.LBB0_5:
	s_or_b32 exec_lo, exec_lo, s0
	v_add_co_u32 v44, s0, 0x1450, v92
	v_add_co_ci_u32_e64 v45, s0, 0, v93, s0
	s_waitcnt lgkmcnt(0)
	s_barrier
	buffer_gl0_inv
	s_clause 0x3
	global_load_dwordx2 v[97:98], v[85:86], off offset:1104
	global_load_dwordx2 v[99:100], v[44:45], off offset:520
	;; [unrolled: 1-line block ×4, first 2 shown]
	v_add_co_u32 v44, s0, 0x1800, v92
	v_add_co_ci_u32_e64 v45, s0, 0, v93, s0
	v_add_co_u32 v46, s0, 0x2000, v92
	v_add_co_ci_u32_e64 v47, s0, 0, v93, s0
	s_clause 0x5
	global_load_dwordx2 v[92:93], v[44:45], off offset:1136
	global_load_dwordx2 v[105:106], v[44:45], off offset:1656
	;; [unrolled: 1-line block ×6, first 2 shown]
	ds_read2_b64 v[44:47], v90 offset1:65
	v_add_nc_u32_e32 v54, 0x800, v90
	v_add_nc_u32_e32 v117, 0x1000, v90
	ds_read2_b64 v[48:51], v90 offset0:130 offset1:195
	ds_read2_b64 v[55:58], v54 offset0:4 offset1:69
	;; [unrolled: 1-line block ×4, first 2 shown]
	s_waitcnt vmcnt(9) lgkmcnt(4)
	v_mul_f32_e32 v63, v45, v98
	v_mul_f32_e32 v116, v44, v98
	s_waitcnt vmcnt(7) lgkmcnt(3)
	v_mul_f32_e32 v98, v48, v102
	s_waitcnt vmcnt(6)
	v_mul_f32_e32 v118, v51, v104
	v_fma_f32 v115, v44, v97, -v63
	v_fmac_f32_e32 v116, v45, v97
	v_mul_f32_e32 v44, v47, v100
	v_mul_f32_e32 v45, v46, v100
	;; [unrolled: 1-line block ×4, first 2 shown]
	s_waitcnt vmcnt(5) lgkmcnt(2)
	v_mul_f32_e32 v119, v56, v93
	v_mul_f32_e32 v102, v55, v93
	s_waitcnt vmcnt(4)
	v_mul_f32_e32 v120, v58, v106
	v_mul_f32_e32 v93, v57, v106
	s_waitcnt vmcnt(3) lgkmcnt(1)
	v_mul_f32_e32 v121, v60, v108
	v_mul_f32_e32 v104, v59, v108
	s_waitcnt vmcnt(2)
	v_mul_f32_e32 v122, v62, v110
	v_mul_f32_e32 v106, v61, v110
	;; [unrolled: 6-line block ×3, first 2 shown]
	v_fma_f32 v44, v46, v99, -v44
	v_fmac_f32_e32 v45, v47, v99
	v_fma_f32 v97, v48, v101, -v97
	v_fmac_f32_e32 v98, v49, v101
	;; [unrolled: 2-line block ×9, first 2 shown]
	ds_write2_b64 v90, v[115:116], v[44:45] offset1:65
	ds_write2_b64 v90, v[97:98], v[99:100] offset0:130 offset1:195
	ds_write2_b64 v54, v[101:102], v[92:93] offset0:4 offset1:69
	;; [unrolled: 1-line block ×4, first 2 shown]
	s_waitcnt lgkmcnt(0)
	s_barrier
	buffer_gl0_inv
	ds_read2_b64 v[44:47], v90 offset1:65
	ds_read2_b64 v[48:51], v90 offset0:130 offset1:195
	ds_read2_b64 v[55:58], v54 offset0:4 offset1:69
	;; [unrolled: 1-line block ×4, first 2 shown]
	s_waitcnt lgkmcnt(0)
	s_barrier
	buffer_gl0_inv
	v_add_f32_e32 v63, v44, v48
	v_sub_f32_e32 v98, v48, v55
	v_add_f32_e32 v92, v55, v59
	v_sub_f32_e32 v93, v49, v86
	v_sub_f32_e32 v99, v85, v59
	v_add_f32_e32 v100, v48, v85
	v_sub_f32_e32 v101, v55, v48
	v_sub_f32_e32 v102, v59, v85
	v_add_f32_e32 v103, v45, v49
	v_add_f32_e32 v104, v56, v60
	v_sub_f32_e32 v106, v49, v56
	v_add_f32_e32 v108, v49, v86
	v_sub_f32_e32 v49, v56, v49
	v_sub_f32_e32 v109, v60, v86
	v_add_f32_e32 v110, v46, v50
	v_add_f32_e32 v111, v57, v61
	;; [unrolled: 1-line block ×5, first 2 shown]
	v_sub_f32_e32 v105, v55, v59
	v_sub_f32_e32 v112, v51, v88
	;; [unrolled: 1-line block ×4, first 2 shown]
	v_add_f32_e32 v116, v50, v87
	v_sub_f32_e32 v118, v57, v50
	v_sub_f32_e32 v50, v50, v87
	;; [unrolled: 1-line block ×5, first 2 shown]
	v_add_f32_e32 v55, v63, v55
	v_fma_f32 v63, -0.5, v92, v44
	v_add_f32_e32 v92, v98, v99
	v_fma_f32 v98, -0.5, v100, v44
	;; [unrolled: 2-line block ×3, first 2 shown]
	v_fma_f32 v101, -0.5, v108, v45
	v_add_f32_e32 v45, v49, v109
	v_add_f32_e32 v49, v110, v57
	v_fma_f32 v57, -0.5, v111, v46
	v_add_f32_e32 v58, v120, v58
	v_fma_f32 v104, -0.5, v121, v47
	v_fmac_f32_e32 v47, -0.5, v125
	v_sub_f32_e32 v107, v86, v60
	v_sub_f32_e32 v115, v87, v61
	;; [unrolled: 1-line block ×5, first 2 shown]
	v_add_f32_e32 v49, v49, v61
	v_fmamk_f32 v61, v112, 0xbf737871, v57
	v_add_f32_e32 v58, v58, v62
	v_fmamk_f32 v62, v50, 0x3f737871, v104
	v_fma_f32 v46, -0.5, v116, v46
	v_fmamk_f32 v110, v122, 0xbf737871, v47
	v_fmac_f32_e32 v47, 0x3f737871, v122
	v_sub_f32_e32 v97, v56, v60
	v_sub_f32_e32 v48, v48, v85
	v_add_f32_e32 v56, v103, v56
	v_fmac_f32_e32 v104, 0xbf737871, v50
	v_add_f32_e32 v100, v106, v107
	v_add_f32_e32 v102, v114, v115
	;; [unrolled: 1-line block ×4, first 2 shown]
	v_fmamk_f32 v59, v93, 0xbf737871, v63
	v_fmac_f32_e32 v63, 0x3f737871, v93
	v_fmac_f32_e32 v61, 0xbf167918, v113
	;; [unrolled: 1-line block ×3, first 2 shown]
	v_add_f32_e32 v51, v51, v126
	v_fmamk_f32 v109, v113, 0x3f737871, v46
	v_fmac_f32_e32 v46, 0xbf737871, v113
	v_fmac_f32_e32 v110, 0x3f167918, v50
	;; [unrolled: 1-line block ×3, first 2 shown]
	v_add_f32_e32 v56, v56, v60
	v_fmamk_f32 v60, v48, 0x3f737871, v99
	v_fmac_f32_e32 v99, 0xbf737871, v48
	v_fmac_f32_e32 v57, 0x3f737871, v112
	;; [unrolled: 1-line block ×7, first 2 shown]
	v_add_f32_e32 v103, v118, v119
	v_fmamk_f32 v107, v97, 0x3f737871, v98
	v_fmac_f32_e32 v98, 0xbf737871, v97
	v_fmamk_f32 v108, v105, 0xbf737871, v101
	v_fmac_f32_e32 v101, 0x3f737871, v105
	v_fmac_f32_e32 v109, 0xbf167918, v112
	;; [unrolled: 1-line block ×9, first 2 shown]
	v_add_f32_e32 v55, v55, v85
	v_fmac_f32_e32 v59, 0x3e9e377a, v92
	v_fmac_f32_e32 v63, 0x3e9e377a, v92
	v_mul_f32_e32 v85, 0xbf167918, v62
	v_mul_f32_e32 v92, 0x3f167918, v61
	v_fmac_f32_e32 v107, 0xbf167918, v93
	v_fmac_f32_e32 v98, 0x3f167918, v93
	v_add_f32_e32 v56, v56, v86
	v_fmac_f32_e32 v108, 0x3f167918, v48
	v_fmac_f32_e32 v101, 0xbf167918, v48
	v_add_f32_e32 v48, v49, v87
	v_fmac_f32_e32 v109, 0x3e9e377a, v103
	v_fmac_f32_e32 v46, 0x3e9e377a, v103
	v_mul_f32_e32 v86, 0xbf737871, v110
	v_mul_f32_e32 v87, 0xbf737871, v47
	;; [unrolled: 1-line block ×4, first 2 shown]
	v_add_f32_e32 v49, v58, v88
	v_fmac_f32_e32 v60, 0x3e9e377a, v100
	v_fmac_f32_e32 v99, 0x3e9e377a, v100
	;; [unrolled: 1-line block ×3, first 2 shown]
	v_mul_f32_e32 v88, 0xbf167918, v104
	v_mul_f32_e32 v100, 0xbf4f1bbd, v104
	v_fmac_f32_e32 v85, 0x3f4f1bbd, v61
	v_fmac_f32_e32 v92, 0x3f4f1bbd, v62
	;; [unrolled: 1-line block ×12, first 2 shown]
	v_add_f32_e32 v44, v55, v48
	v_add_f32_e32 v45, v56, v49
	;; [unrolled: 1-line block ×4, first 2 shown]
	v_sub_f32_e32 v50, v55, v48
	v_sub_f32_e32 v51, v56, v49
	v_add_f32_e32 v55, v107, v86
	v_add_f32_e32 v57, v98, v87
	;; [unrolled: 1-line block ×6, first 2 shown]
	v_sub_f32_e32 v59, v59, v85
	v_sub_f32_e32 v61, v107, v86
	;; [unrolled: 1-line block ×8, first 2 shown]
	ds_write_b128 v94, v[44:47]
	ds_write_b128 v94, v[55:58] offset:16
	ds_write_b128 v94, v[48:51] offset:32
	;; [unrolled: 1-line block ×4, first 2 shown]
	s_waitcnt lgkmcnt(0)
	s_barrier
	buffer_gl0_inv
	ds_read2_b64 v[48:51], v90 offset0:130 offset1:195
	ds_read2_b64 v[55:58], v54 offset0:4 offset1:69
	;; [unrolled: 1-line block ×4, first 2 shown]
	ds_read2_b64 v[44:47], v90 offset1:65
	s_waitcnt lgkmcnt(0)
	s_barrier
	buffer_gl0_inv
	v_mul_f32_e32 v63, v5, v49
	v_mul_f32_e32 v5, v5, v48
	;; [unrolled: 1-line block ×16, first 2 shown]
	v_fmac_f32_e32 v63, v4, v48
	v_fma_f32 v4, v4, v49, -v5
	v_fmac_f32_e32 v92, v6, v55
	v_fma_f32 v5, v6, v56, -v7
	;; [unrolled: 2-line block ×8, first 2 shown]
	v_add_f32_e32 v2, v44, v63
	v_add_f32_e32 v3, v92, v93
	v_sub_f32_e32 v10, v4, v12
	v_sub_f32_e32 v9, v63, v92
	;; [unrolled: 1-line block ×3, first 2 shown]
	v_add_f32_e32 v15, v63, v94
	v_sub_f32_e32 v48, v92, v63
	v_add_f32_e32 v51, v45, v4
	v_add_f32_e32 v55, v5, v6
	v_sub_f32_e32 v56, v63, v94
	v_sub_f32_e32 v58, v4, v5
	v_add_f32_e32 v60, v4, v12
	v_sub_f32_e32 v4, v5, v4
	v_sub_f32_e32 v61, v6, v12
	v_add_f32_e32 v62, v46, v97
	v_add_f32_e32 v63, v98, v99
	;; [unrolled: 1-line block ×6, first 2 shown]
	v_sub_f32_e32 v13, v5, v6
	v_sub_f32_e32 v49, v93, v94
	v_sub_f32_e32 v57, v92, v93
	v_sub_f32_e32 v59, v12, v6
	v_sub_f32_e32 v85, v0, v11
	v_sub_f32_e32 v86, v1, v7
	v_sub_f32_e32 v87, v97, v98
	v_sub_f32_e32 v88, v100, v99
	v_sub_f32_e32 v102, v98, v97
	v_sub_f32_e32 v97, v97, v100
	v_sub_f32_e32 v106, v98, v99
	v_sub_f32_e32 v107, v0, v1
	v_sub_f32_e32 v0, v1, v0
	v_sub_f32_e32 v110, v7, v11
	v_add_f32_e32 v2, v2, v92
	v_fma_f32 v8, -0.5, v3, v44
	v_add_f32_e32 v92, v9, v14
	v_fma_f32 v50, -0.5, v15, v44
	;; [unrolled: 2-line block ×3, first 2 shown]
	v_fma_f32 v51, -0.5, v60, v45
	v_add_f32_e32 v45, v4, v61
	v_add_f32_e32 v4, v62, v98
	v_fma_f32 v14, -0.5, v63, v46
	v_fma_f32 v46, -0.5, v101, v46
	v_add_f32_e32 v1, v104, v1
	v_fma_f32 v15, -0.5, v105, v47
	v_fmac_f32_e32 v47, -0.5, v109
	v_sub_f32_e32 v103, v99, v100
	v_sub_f32_e32 v108, v11, v7
	v_add_f32_e32 v44, v48, v49
	v_add_f32_e32 v55, v58, v59
	;; [unrolled: 1-line block ×5, first 2 shown]
	v_fmamk_f32 v2, v10, 0xbf737871, v8
	v_fmac_f32_e32 v8, 0x3f737871, v10
	v_fmamk_f32 v48, v13, 0x3f737871, v50
	v_fmac_f32_e32 v50, 0xbf737871, v13
	v_add_f32_e32 v62, v3, v6
	v_fmamk_f32 v3, v56, 0x3f737871, v9
	v_fmac_f32_e32 v9, 0xbf737871, v56
	v_fmamk_f32 v49, v57, 0xbf737871, v51
	v_fmac_f32_e32 v51, 0x3f737871, v57
	v_add_f32_e32 v63, v4, v99
	;; [unrolled: 5-line block ×4, first 2 shown]
	v_add_f32_e32 v60, v107, v108
	v_fmac_f32_e32 v2, 0xbf167918, v13
	v_fmac_f32_e32 v8, 0x3f167918, v13
	;; [unrolled: 1-line block ×16, first 2 shown]
	v_add_f32_e32 v0, v0, v94
	v_add_f32_e32 v1, v62, v12
	;; [unrolled: 1-line block ×4, first 2 shown]
	v_fmac_f32_e32 v2, 0x3e9e377a, v92
	v_fmac_f32_e32 v8, 0x3e9e377a, v92
	;; [unrolled: 1-line block ×16, first 2 shown]
	ds_write2_b64 v96, v[0:1], v[2:3] offset1:10
	ds_write2_b64 v96, v[48:49], v[50:51] offset0:20 offset1:30
	ds_write_b64 v96, v[8:9] offset:320
	ds_write2_b64 v95, v[10:11], v[4:5] offset1:10
	ds_write2_b64 v95, v[6:7], v[46:47] offset0:20 offset1:30
	ds_write_b64 v95, v[14:15] offset:320
	s_waitcnt lgkmcnt(0)
	s_barrier
	buffer_gl0_inv
	s_and_saveexec_b32 s0, vcc_lo
	s_cbranch_execz .LBB0_7
; %bb.6:
	ds_read2_b64 v[0:3], v90 offset1:50
	ds_read2_b64 v[12:15], v54 offset0:144 offset1:194
	v_add_nc_u32_e32 v40, 0xc00, v90
	ds_read2_b64 v[48:51], v90 offset0:100 offset1:150
	ds_read2_b64 v[8:11], v90 offset0:200 offset1:250
	;; [unrolled: 1-line block ×3, first 2 shown]
	ds_read_b64 v[52:53], v90 offset:4800
	ds_read2_b64 v[40:43], v40 offset0:116 offset1:166
	s_waitcnt lgkmcnt(5)
	v_mov_b32_e32 v46, v12
	v_mov_b32_e32 v47, v13
.LBB0_7:
	s_or_b32 exec_lo, exec_lo, s0
	s_and_saveexec_b32 s0, vcc_lo
	s_cbranch_execz .LBB0_9
; %bb.8:
	s_waitcnt lgkmcnt(1)
	v_mul_f32_e32 v12, v39, v52
	v_mul_f32_e32 v13, v33, v2
	s_waitcnt lgkmcnt(0)
	v_mul_f32_e32 v45, v37, v42
	v_mul_f32_e32 v54, v35, v48
	;; [unrolled: 1-line block ×3, first 2 shown]
	v_fma_f32 v44, v38, v53, -v12
	v_fma_f32 v55, v32, v3, -v13
	v_mul_f32_e32 v33, v39, v53
	v_fma_f32 v39, v36, v43, -v45
	v_fma_f32 v45, v34, v49, -v54
	v_mul_f32_e32 v49, v35, v49
	v_add_f32_e32 v53, v44, v55
	v_mul_f32_e32 v35, v37, v43
	v_fmac_f32_e32 v56, v32, v2
	v_fmac_f32_e32 v33, v38, v52
	v_add_f32_e32 v37, v39, v45
	v_fmac_f32_e32 v49, v34, v48
	v_fmac_f32_e32 v35, v36, v42
	v_mul_f32_e32 v34, 0xbf788fa5, v53
	v_sub_f32_e32 v13, v56, v33
	v_mul_f32_e32 v32, 0x3f62ad3f, v37
	v_mul_f32_e32 v36, v31, v40
	v_sub_f32_e32 v12, v49, v35
	v_mul_f32_e32 v38, v25, v50
	v_fmamk_f32 v2, v13, 0x3e750f2a, v34
	v_mul_f32_e32 v25, v25, v51
	v_fma_f32 v36, v30, v41, -v36
	v_fmamk_f32 v3, v12, 0xbeedf032, v32
	v_fma_f32 v38, v24, v51, -v38
	v_add_f32_e32 v2, v1, v2
	v_mul_f32_e32 v31, v31, v41
	v_mul_f32_e32 v41, v27, v8
	v_fmac_f32_e32 v25, v24, v50
	v_add_f32_e32 v42, v36, v38
	v_add_f32_e32 v2, v3, v2
	v_mul_f32_e32 v3, v29, v14
	v_mul_f32_e32 v29, v29, v15
	v_fmac_f32_e32 v31, v30, v40
	v_fma_f32 v30, v26, v9, -v41
	v_mul_f32_e32 v27, v27, v9
	v_mul_f32_e32 v40, 0xbf3f9e67, v42
	v_fmac_f32_e32 v29, v28, v14
	v_mul_f32_e32 v14, v21, v10
	v_sub_f32_e32 v9, v25, v31
	v_mul_f32_e32 v48, v21, v11
	v_sub_f32_e32 v51, v55, v44
	v_fma_f32 v24, v28, v15, -v3
	v_fma_f32 v43, v20, v11, -v14
	v_mul_f32_e32 v11, v17, v6
	v_mul_f32_e32 v3, v19, v46
	v_fmamk_f32 v15, v9, 0x3f29c268, v40
	v_mul_f32_e32 v14, v23, v4
	v_mul_f32_e32 v57, 0xbe750f2a, v51
	v_fma_f32 v52, v16, v7, -v11
	v_add_f32_e32 v11, v33, v56
	v_sub_f32_e32 v58, v45, v39
	v_add_f32_e32 v41, v24, v30
	v_fmac_f32_e32 v27, v26, v8
	v_fma_f32 v26, v18, v47, -v3
	v_mul_f32_e32 v47, v19, v47
	v_add_f32_e32 v2, v15, v2
	v_fma_f32 v54, v22, v5, -v14
	v_fmamk_f32 v15, v11, 0xbf788fa5, v57
	v_add_f32_e32 v14, v35, v49
	v_mul_f32_e32 v60, 0x3eedf032, v58
	v_sub_f32_e32 v62, v38, v36
	v_mul_f32_e32 v28, 0x3f116cb1, v41
	v_sub_f32_e32 v8, v27, v29
	v_add_f32_e32 v50, v26, v43
	v_fmac_f32_e32 v48, v20, v10
	v_fmac_f32_e32 v47, v18, v46
	v_mul_f32_e32 v61, v23, v5
	v_mul_f32_e32 v63, v17, v7
	v_add_f32_e32 v5, v0, v15
	v_fmamk_f32 v7, v14, 0x3f62ad3f, v60
	v_add_f32_e32 v15, v31, v25
	v_mul_f32_e32 v85, 0xbf29c268, v62
	v_sub_f32_e32 v86, v30, v24
	v_fmamk_f32 v3, v8, 0xbf52af12, v28
	v_mul_f32_e32 v46, 0xbeb58ec6, v50
	v_sub_f32_e32 v10, v48, v47
	v_add_f32_e32 v59, v52, v54
	v_fmac_f32_e32 v61, v22, v4
	v_fmac_f32_e32 v63, v16, v6
	v_add_f32_e32 v4, v7, v5
	v_fmamk_f32 v5, v15, 0xbf3f9e67, v85
	v_add_f32_e32 v17, v29, v27
	v_mul_f32_e32 v87, 0x3f52af12, v86
	v_sub_f32_e32 v92, v43, v26
	v_add_f32_e32 v2, v3, v2
	v_fmamk_f32 v3, v10, 0x3f6f5d39, v46
	v_mul_f32_e32 v88, 0x3df6dbef, v59
	v_sub_f32_e32 v16, v61, v63
	v_add_f32_e32 v4, v5, v4
	v_fmamk_f32 v5, v17, 0x3f116cb1, v87
	v_add_f32_e32 v18, v47, v48
	v_mul_f32_e32 v93, 0xbf6f5d39, v92
	v_mul_f32_e32 v94, 0xbf3f9e67, v53
	v_add_f32_e32 v2, v3, v2
	v_fmamk_f32 v3, v16, 0xbf7e222b, v88
	v_add_f32_e32 v4, v5, v4
	v_fmamk_f32 v5, v18, 0xbeb58ec6, v93
	v_fmamk_f32 v6, v13, 0x3f29c268, v94
	v_mul_f32_e32 v95, 0x3df6dbef, v37
	v_add_f32_e32 v3, v3, v2
	v_sub_f32_e32 v96, v54, v52
	v_add_f32_e32 v2, v5, v4
	v_add_f32_e32 v4, v1, v6
	v_fmamk_f32 v5, v12, 0xbf7e222b, v95
	v_mul_f32_e32 v97, 0x3f116cb1, v42
	v_mul_f32_e32 v99, 0xbf29c268, v51
	v_add_f32_e32 v19, v63, v61
	v_mul_f32_e32 v98, 0x3f7e222b, v96
	v_add_f32_e32 v4, v5, v4
	v_fmamk_f32 v5, v9, 0x3f52af12, v97
	v_mul_f32_e32 v100, 0xbf788fa5, v41
	v_fmamk_f32 v7, v11, 0xbf3f9e67, v99
	v_mul_f32_e32 v101, 0x3f7e222b, v58
	v_fmamk_f32 v6, v19, 0x3df6dbef, v98
	v_add_f32_e32 v4, v5, v4
	v_fmamk_f32 v5, v8, 0xbe750f2a, v100
	v_mul_f32_e32 v102, 0x3f62ad3f, v50
	v_add_f32_e32 v7, v0, v7
	v_fmamk_f32 v20, v14, 0x3df6dbef, v101
	v_mul_f32_e32 v103, 0xbf52af12, v62
	v_add_f32_e32 v4, v5, v4
	v_fmamk_f32 v5, v10, 0xbeedf032, v102
	v_add_f32_e32 v2, v6, v2
	v_add_f32_e32 v6, v20, v7
	v_fmamk_f32 v7, v15, 0x3f116cb1, v103
	v_mul_f32_e32 v104, 0x3e750f2a, v86
	v_mul_f32_e32 v105, 0xbeb58ec6, v59
	v_mul_f32_e32 v106, 0xbeb58ec6, v53
	v_add_f32_e32 v4, v5, v4
	v_add_f32_e32 v5, v7, v6
	v_fmamk_f32 v6, v17, 0xbf788fa5, v104
	v_mul_f32_e32 v107, 0x3eedf032, v92
	v_fmamk_f32 v7, v16, 0x3f6f5d39, v105
	v_fmamk_f32 v20, v13, 0x3f6f5d39, v106
	v_mul_f32_e32 v108, 0xbf3f9e67, v37
	v_add_f32_e32 v6, v6, v5
	v_fmamk_f32 v21, v18, 0x3f62ad3f, v107
	v_add_f32_e32 v5, v7, v4
	v_add_f32_e32 v4, v1, v20
	v_fmamk_f32 v7, v12, 0xbf29c268, v108
	v_mul_f32_e32 v109, 0x3f62ad3f, v42
	v_mul_f32_e32 v111, 0xbf6f5d39, v51
	v_add_f32_e32 v6, v21, v6
	v_mul_f32_e32 v110, 0xbf6f5d39, v96
	v_add_f32_e32 v4, v7, v4
	v_fmamk_f32 v7, v9, 0xbeedf032, v109
	v_mul_f32_e32 v112, 0x3df6dbef, v41
	v_fmamk_f32 v21, v11, 0xbeb58ec6, v111
	v_mul_f32_e32 v113, 0x3f29c268, v58
	v_fmamk_f32 v20, v19, 0xbeb58ec6, v110
	v_add_f32_e32 v4, v7, v4
	v_fmamk_f32 v7, v8, 0x3f7e222b, v112
	v_mul_f32_e32 v114, 0xbf788fa5, v50
	v_add_f32_e32 v21, v0, v21
	v_fmamk_f32 v22, v14, 0xbf3f9e67, v113
	v_mul_f32_e32 v115, 0x3eedf032, v62
	v_add_f32_e32 v7, v7, v4
	v_fmamk_f32 v23, v10, 0xbe750f2a, v114
	v_add_f32_e32 v4, v20, v6
	v_add_f32_e32 v6, v22, v21
	v_fmamk_f32 v20, v15, 0x3f62ad3f, v115
	v_mul_f32_e32 v116, 0xbf7e222b, v86
	v_mul_f32_e32 v117, 0x3f116cb1, v59
	v_mul_f32_e32 v118, 0x3df6dbef, v53
	v_add_f32_e32 v7, v23, v7
	v_add_f32_e32 v6, v20, v6
	v_fmamk_f32 v20, v17, 0x3df6dbef, v116
	v_mul_f32_e32 v119, 0x3e750f2a, v92
	v_fmamk_f32 v21, v16, 0xbf52af12, v117
	v_fmamk_f32 v22, v13, 0x3f7e222b, v118
	v_mul_f32_e32 v120, 0xbf788fa5, v37
	v_add_f32_e32 v6, v20, v6
	v_fmamk_f32 v20, v18, 0xbf788fa5, v119
	;; [unrolled: 36-line block ×3, first 2 shown]
	v_add_f32_e32 v21, v23, v20
	v_add_f32_e32 v20, v1, v132
	v_fmamk_f32 v23, v12, 0x3f6f5d39, v133
	v_mul_f32_e32 v132, 0xbf788fa5, v42
	v_mul_f32_e32 v135, 0xbf52af12, v51
	v_add_f32_e32 v55, v55, v1
	v_add_f32_e32 v22, v134, v22
	v_mul_f32_e32 v134, 0xbf29c268, v96
	v_add_f32_e32 v20, v23, v20
	v_fmamk_f32 v23, v9, 0x3e750f2a, v132
	v_mul_f32_e32 v136, 0xbf3f9e67, v41
	v_fmamk_f32 v138, v11, 0x3f116cb1, v135
	v_mul_f32_e32 v139, 0xbf6f5d39, v58
	v_add_f32_e32 v45, v45, v55
	v_add_f32_e32 v55, v0, v56
	v_fmamk_f32 v137, v19, 0xbf3f9e67, v134
	v_add_f32_e32 v20, v23, v20
	v_fmamk_f32 v23, v8, 0xbf29c268, v136
	v_mul_f32_e32 v140, 0x3df6dbef, v50
	v_add_f32_e32 v138, v0, v138
	v_fmamk_f32 v141, v14, 0xbeb58ec6, v139
	v_add_f32_e32 v38, v38, v45
	v_add_f32_e32 v45, v49, v55
	;; [unrolled: 1-line block ×3, first 2 shown]
	v_fmamk_f32 v143, v10, 0xbf7e222b, v140
	v_add_f32_e32 v20, v137, v22
	v_add_f32_e32 v22, v141, v138
	v_mul_f32_e32 v141, 0x3f62ad3f, v59
	v_mul_f32_e32 v53, 0x3f62ad3f, v53
	;; [unrolled: 1-line block ×3, first 2 shown]
	v_add_f32_e32 v30, v30, v38
	v_add_f32_e32 v25, v25, v45
	;; [unrolled: 1-line block ×3, first 2 shown]
	v_fmamk_f32 v144, v16, 0xbeedf032, v141
	v_fmamk_f32 v145, v13, 0x3eedf032, v53
	v_mul_f32_e32 v37, 0x3f116cb1, v37
	v_fmamk_f32 v55, v11, 0x3f62ad3f, v51
	v_mul_f32_e32 v38, 0xbf52af12, v58
	v_add_f32_e32 v30, v43, v30
	v_add_f32_e32 v25, v27, v25
	;; [unrolled: 1-line block ×4, first 2 shown]
	v_fmamk_f32 v145, v12, 0x3f52af12, v37
	v_mul_f32_e32 v42, 0x3df6dbef, v42
	v_mul_f32_e32 v45, 0xbf3f9e67, v50
	v_add_f32_e32 v50, v0, v55
	v_fmamk_f32 v27, v14, 0x3f116cb1, v38
	v_mul_f32_e32 v43, 0xbf7e222b, v62
	v_add_f32_e32 v30, v54, v30
	v_add_f32_e32 v25, v48, v25
	;; [unrolled: 1-line block ×3, first 2 shown]
	v_fmamk_f32 v145, v9, 0x3f7e222b, v42
	v_mul_f32_e32 v41, 0xbeb58ec6, v41
	v_add_f32_e32 v27, v27, v50
	v_fmamk_f32 v48, v15, 0x3df6dbef, v43
	v_mul_f32_e32 v50, 0xbf6f5d39, v86
	v_add_f32_e32 v30, v52, v30
	v_add_f32_e32 v25, v61, v25
	;; [unrolled: 1-line block ×3, first 2 shown]
	v_fmamk_f32 v144, v8, 0x3f6f5d39, v41
	v_add_f32_e32 v27, v48, v27
	v_fmamk_f32 v48, v17, 0xbeb58ec6, v50
	v_add_f32_e32 v26, v26, v30
	v_add_f32_e32 v25, v63, v25
	v_mul_f32_e32 v52, 0xbf29c268, v92
	v_add_f32_e32 v49, v144, v56
	v_fmamk_f32 v55, v10, 0x3f29c268, v45
	v_mul_f32_e32 v54, 0xbf788fa5, v59
	v_add_f32_e32 v27, v48, v27
	v_add_f32_e32 v24, v24, v26
	;; [unrolled: 1-line block ×3, first 2 shown]
	v_fmamk_f32 v26, v18, 0xbf3f9e67, v52
	v_mul_f32_e32 v47, 0xbe750f2a, v96
	v_add_f32_e32 v49, v55, v49
	v_fmamk_f32 v30, v16, 0x3e750f2a, v54
	v_add_f32_e32 v24, v36, v24
	v_add_f32_e32 v29, v29, v25
	;; [unrolled: 1-line block ×3, first 2 shown]
	v_fmamk_f32 v27, v19, 0xbf788fa5, v47
	v_add_f32_e32 v25, v30, v49
	v_add_f32_e32 v30, v39, v24
	;; [unrolled: 1-line block ×3, first 2 shown]
	v_fmac_f32_e32 v34, 0xbe750f2a, v13
	v_add_f32_e32 v24, v27, v26
	v_fma_f32 v26, 0xbf788fa5, v11, -v57
	v_add_f32_e32 v27, v44, v30
	v_add_f32_e32 v29, v35, v29
	;; [unrolled: 1-line block ×3, first 2 shown]
	v_fmac_f32_e32 v32, 0x3eedf032, v12
	v_add_f32_e32 v31, v0, v26
	v_fma_f32 v34, 0x3f62ad3f, v14, -v60
	v_fmac_f32_e32 v94, 0xbf29c268, v13
	v_add_f32_e32 v26, v33, v29
	v_add_f32_e32 v29, v32, v30
	v_fmac_f32_e32 v40, 0xbf29c268, v9
	v_add_f32_e32 v30, v34, v31
	v_fma_f32 v31, 0xbf3f9e67, v15, -v85
	v_add_f32_e32 v32, v1, v94
	v_fmac_f32_e32 v95, 0x3f7e222b, v12
	v_add_f32_e32 v29, v40, v29
	v_fmac_f32_e32 v28, 0x3f52af12, v8
	v_add_f32_e32 v30, v31, v30
	v_fma_f32 v31, 0x3f116cb1, v17, -v87
	v_add_f32_e32 v32, v95, v32
	v_fmac_f32_e32 v97, 0xbf52af12, v9
	;; [unrolled: 6-line block ×4, first 2 shown]
	v_fma_f32 v33, 0xbf3f9e67, v11, -v99
	v_add_f32_e32 v29, v88, v28
	v_add_f32_e32 v28, v32, v30
	v_fmac_f32_e32 v106, 0xbf6f5d39, v13
	v_add_f32_e32 v30, v102, v31
	v_fmac_f32_e32 v105, 0xbf6f5d39, v16
	v_add_f32_e32 v32, v0, v33
	v_fma_f32 v33, 0x3df6dbef, v14, -v101
	v_add_f32_e32 v34, v1, v106
	v_fmac_f32_e32 v108, 0x3f29c268, v12
	v_add_f32_e32 v31, v105, v30
	v_fma_f32 v30, 0xbeb58ec6, v11, -v111
	v_add_f32_e32 v32, v33, v32
	v_fma_f32 v33, 0x3f116cb1, v15, -v103
	v_add_f32_e32 v34, v108, v34
	v_fmac_f32_e32 v109, 0x3eedf032, v9
	v_add_f32_e32 v30, v0, v30
	v_fma_f32 v35, 0xbf3f9e67, v14, -v113
	;; [unrolled: 6-line block ×5, first 2 shown]
	v_add_f32_e32 v30, v33, v32
	v_fma_f32 v32, 0x3df6dbef, v11, -v123
	v_add_f32_e32 v33, v117, v34
	v_fma_f32 v39, 0x3f116cb1, v19, -v122
	;; [unrolled: 2-line block ×4, first 2 shown]
	v_mul_f32_e32 v142, 0xbe750f2a, v62
	v_fmac_f32_e32 v118, 0xbf7e222b, v13
	v_fmac_f32_e32 v130, 0xbf52af12, v13
	v_add_f32_e32 v32, v36, v32
	v_fma_f32 v36, 0xbeb58ec6, v15, -v128
	v_fmac_f32_e32 v53, 0xbeedf032, v13
	v_fmamk_f32 v137, v15, 0xbf788fa5, v142
	v_mul_f32_e32 v138, 0x3f29c268, v86
	v_add_f32_e32 v35, v1, v118
	v_add_f32_e32 v32, v36, v32
	v_fma_f32 v36, 0x3f62ad3f, v17, -v127
	v_add_f32_e32 v40, v1, v130
	v_add_f32_e32 v1, v1, v53
	v_fmac_f32_e32 v37, 0xbf52af12, v12
	v_fmac_f32_e32 v120, 0xbe750f2a, v12
	v_add_f32_e32 v32, v36, v32
	v_fma_f32 v36, 0x3f116cb1, v18, -v131
	v_fmac_f32_e32 v133, 0xbf6f5d39, v12
	v_add_f32_e32 v22, v137, v22
	v_fmamk_f32 v137, v17, 0xbf3f9e67, v138
	v_mul_f32_e32 v143, 0x3f7e222b, v92
	v_add_f32_e32 v36, v36, v32
	v_add_f32_e32 v32, v39, v34
	v_add_f32_e32 v1, v37, v1
	v_fmac_f32_e32 v42, 0xbf7e222b, v9
	v_add_f32_e32 v35, v120, v35
	v_add_f32_e32 v34, v44, v36
	v_fma_f32 v36, 0x3f116cb1, v11, -v135
	v_fma_f32 v11, 0x3f62ad3f, v11, -v51
	v_fmac_f32_e32 v121, 0x3f6f5d39, v9
	v_add_f32_e32 v40, v133, v40
	v_fmac_f32_e32 v132, 0xbe750f2a, v9
	v_add_f32_e32 v13, v0, v36
	v_fma_f32 v36, 0xbeb58ec6, v14, -v139
	v_add_f32_e32 v0, v0, v11
	v_fma_f32 v11, 0x3f116cb1, v14, -v38
	v_fma_f32 v9, 0x3df6dbef, v15, -v43
	v_add_f32_e32 v22, v137, v22
	v_add_f32_e32 v12, v36, v13
	v_fma_f32 v13, 0xbf788fa5, v15, -v142
	v_add_f32_e32 v0, v11, v0
	v_fmamk_f32 v137, v18, 0x3df6dbef, v143
	v_add_f32_e32 v1, v42, v1
	v_fmac_f32_e32 v41, 0xbf6f5d39, v8
	v_add_f32_e32 v11, v13, v12
	v_fma_f32 v12, 0xbf3f9e67, v17, -v138
	v_add_f32_e32 v35, v121, v35
	v_fmac_f32_e32 v124, 0x3eedf032, v8
	v_add_f32_e32 v40, v132, v40
	v_fmac_f32_e32 v136, 0x3f29c268, v8
	v_add_f32_e32 v0, v9, v0
	v_fma_f32 v8, 0xbeb58ec6, v17, -v50
	v_add_f32_e32 v22, v137, v22
	v_mul_f32_e32 v137, 0x3eedf032, v96
	v_add_f32_e32 v9, v12, v11
	v_fma_f32 v11, 0x3df6dbef, v18, -v143
	v_add_f32_e32 v1, v41, v1
	v_fmac_f32_e32 v45, 0xbf29c268, v10
	v_add_f32_e32 v35, v124, v35
	v_fmac_f32_e32 v126, 0xbf52af12, v10
	;; [unrolled: 2-line block ×3, first 2 shown]
	v_add_f32_e32 v0, v8, v0
	v_fma_f32 v8, 0xbf3f9e67, v18, -v52
	v_fmamk_f32 v146, v19, 0x3f62ad3f, v137
	v_add_f32_e32 v9, v11, v9
	v_fma_f32 v10, 0x3f62ad3f, v19, -v137
	v_lshl_add_u32 v13, v89, 3, v91
	v_add_f32_e32 v11, v45, v1
	v_fmac_f32_e32 v54, 0xbe750f2a, v16
	v_add_f32_e32 v35, v126, v35
	v_fmac_f32_e32 v129, 0xbf29c268, v16
	;; [unrolled: 2-line block ×3, first 2 shown]
	v_add_f32_e32 v8, v8, v0
	v_fma_f32 v12, 0xbf788fa5, v19, -v47
	v_add_f32_e32 v22, v146, v22
	v_add_f32_e32 v0, v10, v9
	v_add_nc_u32_e32 v10, 0x400, v13
	v_add_f32_e32 v9, v54, v11
	v_add_nc_u32_e32 v11, 0x800, v13
	v_add_f32_e32 v35, v129, v35
	v_add_f32_e32 v1, v141, v39
	;; [unrolled: 1-line block ×3, first 2 shown]
	v_add_nc_u32_e32 v12, 0x1000, v13
	ds_write_b64 v90, v[26:27]
	ds_write2_b64 v13, v[24:25], v[22:23] offset0:50 offset1:100
	ds_write2_b64 v13, v[20:21], v[6:7] offset0:150 offset1:200
	;; [unrolled: 1-line block ×6, first 2 shown]
.LBB0_9:
	s_or_b32 exec_lo, exec_lo, s0
	s_waitcnt lgkmcnt(0)
	s_barrier
	buffer_gl0_inv
	ds_read2_b64 v[0:3], v90 offset1:65
	v_mad_u64_u32 v[12:13], null, s10, v64, 0
	ds_read2_b64 v[4:7], v90 offset0:130 offset1:195
	v_mad_u64_u32 v[14:15], null, s8, v89, 0
	v_add_nc_u32_e32 v9, 0x800, v90
	s_mov_b32 s0, 0x7f9b2ce6
	s_mov_b32 s1, 0x3f5934c6
	v_mov_b32_e32 v8, v13
	s_mul_i32 s3, s9, 0x208
	s_mul_hi_u32 s6, s8, 0x208
	s_mul_i32 s2, s8, 0x208
	s_add_i32 s3, s6, s3
	v_mad_u64_u32 v[24:25], null, s11, v64, v[8:9]
	s_waitcnt lgkmcnt(1)
	v_mul_f32_e32 v10, v74, v1
	v_mul_f32_e32 v11, v74, v0
	;; [unrolled: 1-line block ×4, first 2 shown]
	s_waitcnt lgkmcnt(0)
	v_mul_f32_e32 v27, v68, v4
	v_fmac_f32_e32 v10, v73, v0
	v_fma_f32 v1, v73, v1, -v11
	v_fmac_f32_e32 v20, v83, v2
	v_fma_f32 v2, v83, v3, -v16
	v_mov_b32_e32 v0, v15
	v_cvt_f64_f32_e32 v[16:17], v10
	v_cvt_f64_f32_e32 v[18:19], v1
	;; [unrolled: 1-line block ×4, first 2 shown]
	v_mad_u64_u32 v[25:26], null, s9, v89, v[0:1]
	ds_read2_b64 v[0:3], v9 offset0:4 offset1:69
	ds_read2_b64 v[8:11], v9 offset0:134 offset1:199
	v_mul_f32_e32 v26, v68, v5
	v_mov_b32_e32 v13, v24
	v_mul_f32_e32 v28, v70, v7
	v_mul_f32_e32 v29, v70, v6
	v_fma_f32 v24, v67, v5, -v27
	v_mov_b32_e32 v15, v25
	v_fmac_f32_e32 v26, v67, v4
	v_lshlrev_b64 v[4:5], 3, v[12:13]
	v_fmac_f32_e32 v28, v69, v6
	v_fma_f32 v27, v69, v7, -v29
	v_lshlrev_b64 v[6:7], 3, v[14:15]
	v_cvt_f64_f32_e32 v[12:13], v26
	v_add_co_u32 v4, vcc_lo, s4, v4
	v_add_co_ci_u32_e32 v5, vcc_lo, s5, v5, vcc_lo
	v_mul_f64 v[14:15], v[16:17], s[0:1]
	v_mul_f64 v[16:17], v[18:19], s[0:1]
	;; [unrolled: 1-line block ×4, first 2 shown]
	v_cvt_f64_f32_e32 v[22:23], v24
	v_cvt_f64_f32_e32 v[24:25], v28
	v_add_co_u32 v28, vcc_lo, v4, v6
	v_cvt_f64_f32_e32 v[26:27], v27
	v_add_co_ci_u32_e32 v29, vcc_lo, v5, v7, vcc_lo
	s_waitcnt lgkmcnt(1)
	v_mul_f32_e32 v4, v82, v0
	v_add_nc_u32_e32 v5, 0x1000, v90
	v_mul_f32_e32 v32, v82, v1
	s_waitcnt lgkmcnt(0)
	v_mul_f32_e32 v34, v66, v11
	v_add_co_u32 v30, vcc_lo, v28, s2
	v_fma_f32 v33, v81, v1, -v4
	ds_read2_b64 v[4:7], v5 offset0:8 offset1:73
	v_fmac_f32_e32 v32, v81, v0
	v_fmac_f32_e32 v34, v65, v10
	v_mul_f32_e32 v10, v66, v10
	v_cvt_f32_f64_e32 v14, v[14:15]
	v_cvt_f32_f64_e32 v15, v[16:17]
	v_cvt_f32_f64_e32 v16, v[18:19]
	v_cvt_f32_f64_e32 v17, v[20:21]
	v_mul_f64 v[18:19], v[22:23], s[0:1]
	v_mul_f64 v[0:1], v[24:25], s[0:1]
	v_cvt_f64_f32_e32 v[22:23], v32
	v_cvt_f64_f32_e32 v[24:25], v33
	v_mul_f64 v[20:21], v[26:27], s[0:1]
	v_mul_f32_e32 v26, v80, v3
	v_mul_f32_e32 v27, v80, v2
	v_mul_f32_e32 v32, v76, v9
	v_mul_f32_e32 v33, v76, v8
	v_fma_f32 v10, v65, v11, -v10
	v_fmac_f32_e32 v26, v79, v2
	v_fma_f32 v27, v79, v3, -v27
	s_waitcnt lgkmcnt(0)
	v_mul_f32_e32 v36, v72, v5
	v_mul_f32_e32 v37, v72, v4
	;; [unrolled: 1-line block ×4, first 2 shown]
	v_fmac_f32_e32 v32, v75, v8
	v_fma_f32 v33, v75, v9, -v33
	v_fmac_f32_e32 v36, v71, v4
	v_fma_f32 v11, v71, v5, -v37
	v_cvt_f64_f32_e32 v[2:3], v26
	v_cvt_f64_f32_e32 v[8:9], v27
	v_fmac_f32_e32 v38, v77, v6
	v_fma_f32 v39, v77, v7, -v39
	v_cvt_f64_f32_e32 v[26:27], v32
	v_cvt_f64_f32_e32 v[32:33], v33
	;; [unrolled: 1-line block ×8, first 2 shown]
	v_mul_f64 v[12:13], v[12:13], s[0:1]
	v_add_co_ci_u32_e32 v31, vcc_lo, s3, v29, vcc_lo
	global_store_dwordx2 v[28:29], v[14:15], off
	global_store_dwordx2 v[30:31], v[16:17], off
	v_mul_f64 v[14:15], v[22:23], s[0:1]
	v_mul_f64 v[16:17], v[24:25], s[0:1]
	v_cvt_f32_f64_e32 v0, v[0:1]
	v_cvt_f32_f64_e32 v1, v[20:21]
	v_mul_f64 v[2:3], v[2:3], s[0:1]
	v_mul_f64 v[8:9], v[8:9], s[0:1]
	v_mul_f64 v[20:21], v[26:27], s[0:1]
	v_mul_f64 v[22:23], v[32:33], s[0:1]
	v_mul_f64 v[24:25], v[34:35], s[0:1]
	v_mul_f64 v[4:5], v[4:5], s[0:1]
	v_mul_f64 v[6:7], v[6:7], s[0:1]
	v_mul_f64 v[10:11], v[10:11], s[0:1]
	v_mul_f64 v[26:27], v[36:37], s[0:1]
	v_mul_f64 v[28:29], v[38:39], s[0:1]
	v_cvt_f32_f64_e32 v12, v[12:13]
	v_cvt_f32_f64_e32 v13, v[18:19]
	v_add_co_u32 v18, vcc_lo, v30, s2
	v_add_co_ci_u32_e32 v19, vcc_lo, s3, v31, vcc_lo
	v_cvt_f32_f64_e32 v14, v[14:15]
	v_add_co_u32 v30, vcc_lo, v18, s2
	v_add_co_ci_u32_e32 v31, vcc_lo, s3, v19, vcc_lo
	;; [unrolled: 3-line block ×3, first 2 shown]
	v_cvt_f32_f64_e32 v2, v[2:3]
	v_cvt_f32_f64_e32 v3, v[8:9]
	v_add_co_u32 v8, vcc_lo, v16, s2
	v_add_co_ci_u32_e32 v9, vcc_lo, s3, v17, vcc_lo
	v_cvt_f32_f64_e32 v20, v[20:21]
	v_cvt_f32_f64_e32 v21, v[22:23]
	;; [unrolled: 1-line block ×8, first 2 shown]
	v_add_co_u32 v10, vcc_lo, v8, s2
	v_add_co_ci_u32_e32 v11, vcc_lo, s3, v9, vcc_lo
	global_store_dwordx2 v[18:19], v[12:13], off
	v_add_co_u32 v12, vcc_lo, v10, s2
	v_add_co_ci_u32_e32 v13, vcc_lo, s3, v11, vcc_lo
	global_store_dwordx2 v[30:31], v[0:1], off
	;; [unrolled: 3-line block ×4, first 2 shown]
	global_store_dwordx2 v[10:11], v[20:21], off
	global_store_dwordx2 v[12:13], v[22:23], off
	;; [unrolled: 1-line block ×4, first 2 shown]
.LBB0_10:
	s_endpgm
	.section	.rodata,"a",@progbits
	.p2align	6, 0x0
	.amdhsa_kernel bluestein_single_back_len650_dim1_sp_op_CI_CI
		.amdhsa_group_segment_fixed_size 15600
		.amdhsa_private_segment_fixed_size 0
		.amdhsa_kernarg_size 104
		.amdhsa_user_sgpr_count 6
		.amdhsa_user_sgpr_private_segment_buffer 1
		.amdhsa_user_sgpr_dispatch_ptr 0
		.amdhsa_user_sgpr_queue_ptr 0
		.amdhsa_user_sgpr_kernarg_segment_ptr 1
		.amdhsa_user_sgpr_dispatch_id 0
		.amdhsa_user_sgpr_flat_scratch_init 0
		.amdhsa_user_sgpr_private_segment_size 0
		.amdhsa_wavefront_size32 1
		.amdhsa_uses_dynamic_stack 0
		.amdhsa_system_sgpr_private_segment_wavefront_offset 0
		.amdhsa_system_sgpr_workgroup_id_x 1
		.amdhsa_system_sgpr_workgroup_id_y 0
		.amdhsa_system_sgpr_workgroup_id_z 0
		.amdhsa_system_sgpr_workgroup_info 0
		.amdhsa_system_vgpr_workitem_id 0
		.amdhsa_next_free_vgpr 232
		.amdhsa_next_free_sgpr 20
		.amdhsa_reserve_vcc 1
		.amdhsa_reserve_flat_scratch 0
		.amdhsa_float_round_mode_32 0
		.amdhsa_float_round_mode_16_64 0
		.amdhsa_float_denorm_mode_32 3
		.amdhsa_float_denorm_mode_16_64 3
		.amdhsa_dx10_clamp 1
		.amdhsa_ieee_mode 1
		.amdhsa_fp16_overflow 0
		.amdhsa_workgroup_processor_mode 1
		.amdhsa_memory_ordered 1
		.amdhsa_forward_progress 0
		.amdhsa_shared_vgpr_count 0
		.amdhsa_exception_fp_ieee_invalid_op 0
		.amdhsa_exception_fp_denorm_src 0
		.amdhsa_exception_fp_ieee_div_zero 0
		.amdhsa_exception_fp_ieee_overflow 0
		.amdhsa_exception_fp_ieee_underflow 0
		.amdhsa_exception_fp_ieee_inexact 0
		.amdhsa_exception_int_div_zero 0
	.end_amdhsa_kernel
	.text
.Lfunc_end0:
	.size	bluestein_single_back_len650_dim1_sp_op_CI_CI, .Lfunc_end0-bluestein_single_back_len650_dim1_sp_op_CI_CI
                                        ; -- End function
	.section	.AMDGPU.csdata,"",@progbits
; Kernel info:
; codeLenInByte = 12960
; NumSgprs: 22
; NumVgprs: 232
; ScratchSize: 0
; MemoryBound: 0
; FloatMode: 240
; IeeeMode: 1
; LDSByteSize: 15600 bytes/workgroup (compile time only)
; SGPRBlocks: 2
; VGPRBlocks: 28
; NumSGPRsForWavesPerEU: 22
; NumVGPRsForWavesPerEU: 232
; Occupancy: 4
; WaveLimiterHint : 1
; COMPUTE_PGM_RSRC2:SCRATCH_EN: 0
; COMPUTE_PGM_RSRC2:USER_SGPR: 6
; COMPUTE_PGM_RSRC2:TRAP_HANDLER: 0
; COMPUTE_PGM_RSRC2:TGID_X_EN: 1
; COMPUTE_PGM_RSRC2:TGID_Y_EN: 0
; COMPUTE_PGM_RSRC2:TGID_Z_EN: 0
; COMPUTE_PGM_RSRC2:TIDIG_COMP_CNT: 0
	.text
	.p2alignl 6, 3214868480
	.fill 48, 4, 3214868480
	.type	__hip_cuid_66547bced198ae59,@object ; @__hip_cuid_66547bced198ae59
	.section	.bss,"aw",@nobits
	.globl	__hip_cuid_66547bced198ae59
__hip_cuid_66547bced198ae59:
	.byte	0                               ; 0x0
	.size	__hip_cuid_66547bced198ae59, 1

	.ident	"AMD clang version 19.0.0git (https://github.com/RadeonOpenCompute/llvm-project roc-6.4.0 25133 c7fe45cf4b819c5991fe208aaa96edf142730f1d)"
	.section	".note.GNU-stack","",@progbits
	.addrsig
	.addrsig_sym __hip_cuid_66547bced198ae59
	.amdgpu_metadata
---
amdhsa.kernels:
  - .args:
      - .actual_access:  read_only
        .address_space:  global
        .offset:         0
        .size:           8
        .value_kind:     global_buffer
      - .actual_access:  read_only
        .address_space:  global
        .offset:         8
        .size:           8
        .value_kind:     global_buffer
      - .actual_access:  read_only
        .address_space:  global
        .offset:         16
        .size:           8
        .value_kind:     global_buffer
      - .actual_access:  read_only
        .address_space:  global
        .offset:         24
        .size:           8
        .value_kind:     global_buffer
      - .actual_access:  read_only
        .address_space:  global
        .offset:         32
        .size:           8
        .value_kind:     global_buffer
      - .offset:         40
        .size:           8
        .value_kind:     by_value
      - .address_space:  global
        .offset:         48
        .size:           8
        .value_kind:     global_buffer
      - .address_space:  global
        .offset:         56
        .size:           8
        .value_kind:     global_buffer
      - .address_space:  global
        .offset:         64
        .size:           8
        .value_kind:     global_buffer
      - .address_space:  global
        .offset:         72
        .size:           8
        .value_kind:     global_buffer
      - .offset:         80
        .size:           4
        .value_kind:     by_value
      - .address_space:  global
        .offset:         88
        .size:           8
        .value_kind:     global_buffer
      - .address_space:  global
        .offset:         96
        .size:           8
        .value_kind:     global_buffer
    .group_segment_fixed_size: 15600
    .kernarg_segment_align: 8
    .kernarg_segment_size: 104
    .language:       OpenCL C
    .language_version:
      - 2
      - 0
    .max_flat_workgroup_size: 195
    .name:           bluestein_single_back_len650_dim1_sp_op_CI_CI
    .private_segment_fixed_size: 0
    .sgpr_count:     22
    .sgpr_spill_count: 0
    .symbol:         bluestein_single_back_len650_dim1_sp_op_CI_CI.kd
    .uniform_work_group_size: 1
    .uses_dynamic_stack: false
    .vgpr_count:     232
    .vgpr_spill_count: 0
    .wavefront_size: 32
    .workgroup_processor_mode: 1
amdhsa.target:   amdgcn-amd-amdhsa--gfx1030
amdhsa.version:
  - 1
  - 2
...

	.end_amdgpu_metadata
